;; amdgpu-corpus repo=ROCm/rocFFT kind=compiled arch=gfx1201 opt=O3
	.text
	.amdgcn_target "amdgcn-amd-amdhsa--gfx1201"
	.amdhsa_code_object_version 6
	.protected	bluestein_single_fwd_len715_dim1_sp_op_CI_CI ; -- Begin function bluestein_single_fwd_len715_dim1_sp_op_CI_CI
	.globl	bluestein_single_fwd_len715_dim1_sp_op_CI_CI
	.p2align	8
	.type	bluestein_single_fwd_len715_dim1_sp_op_CI_CI,@function
bluestein_single_fwd_len715_dim1_sp_op_CI_CI: ; @bluestein_single_fwd_len715_dim1_sp_op_CI_CI
; %bb.0:
	s_load_b128 s[8:11], s[0:1], 0x28
	v_mul_u32_u24_e32 v1, 0x3f1, v0
	s_mov_b32 s2, exec_lo
	s_delay_alu instid0(VALU_DEP_1) | instskip(NEXT) | instid1(VALU_DEP_1)
	v_lshrrev_b32_e32 v1, 16, v1
	v_mad_co_u64_u32 v[74:75], null, ttmp9, 3, v[1:2]
	v_mov_b32_e32 v75, 0
                                        ; kill: def $vgpr2 killed $sgpr0 killed $exec
	s_wait_kmcnt 0x0
	s_delay_alu instid0(VALU_DEP_1)
	v_cmpx_gt_u64_e64 s[8:9], v[74:75]
	s_cbranch_execz .LBB0_23
; %bb.1:
	v_mul_hi_u32 v2, 0xaaaaaaab, v74
	s_clause 0x1
	s_load_b64 s[8:9], s[0:1], 0x0
	s_load_b64 s[12:13], s[0:1], 0x38
	v_mul_lo_u16 v1, 0x41, v1
	s_delay_alu instid0(VALU_DEP_1) | instskip(NEXT) | instid1(VALU_DEP_3)
	v_sub_nc_u16 v0, v0, v1
	v_lshrrev_b32_e32 v2, 1, v2
	s_delay_alu instid0(VALU_DEP_2) | instskip(NEXT) | instid1(VALU_DEP_2)
	v_and_b32_e32 v82, 0xffff, v0
	v_lshl_add_u32 v2, v2, 1, v2
	v_cmp_gt_u16_e32 vcc_lo, 55, v0
	s_delay_alu instid0(VALU_DEP_3) | instskip(NEXT) | instid1(VALU_DEP_3)
	v_lshlrev_b32_e32 v81, 3, v82
	v_sub_nc_u32_e32 v1, v74, v2
	s_delay_alu instid0(VALU_DEP_1) | instskip(NEXT) | instid1(VALU_DEP_1)
	v_mul_u32_u24_e32 v54, 0x2cb, v1
	v_lshlrev_b32_e32 v83, 3, v54
	s_and_saveexec_b32 s3, vcc_lo
	s_cbranch_execz .LBB0_3
; %bb.2:
	s_load_b64 s[4:5], s[0:1], 0x18
	s_delay_alu instid0(VALU_DEP_1)
	v_lshl_add_u32 v56, v82, 3, v83
	s_wait_kmcnt 0x0
	s_load_b128 s[4:7], s[4:5], 0x0
	s_wait_kmcnt 0x0
	v_mad_co_u64_u32 v[0:1], null, s6, v74, 0
	v_mad_co_u64_u32 v[2:3], null, s4, v82, 0
	s_delay_alu instid0(VALU_DEP_1) | instskip(NEXT) | instid1(VALU_DEP_1)
	v_mad_co_u64_u32 v[4:5], null, s7, v74, v[1:2]
	v_mad_co_u64_u32 v[5:6], null, s5, v82, v[3:4]
	v_mov_b32_e32 v1, v4
	s_mul_u64 s[4:5], s[4:5], 0x1b8
	s_delay_alu instid0(VALU_DEP_1) | instskip(NEXT) | instid1(VALU_DEP_3)
	v_lshlrev_b64_e32 v[0:1], 3, v[0:1]
	v_mov_b32_e32 v3, v5
	s_delay_alu instid0(VALU_DEP_2) | instskip(NEXT) | instid1(VALU_DEP_2)
	v_add_co_u32 v10, s2, s10, v0
	v_lshlrev_b64_e32 v[2:3], 3, v[2:3]
	s_delay_alu instid0(VALU_DEP_4)
	v_add_co_ci_u32_e64 v11, s2, s11, v1, s2
	s_clause 0xa
	global_load_b64 v[0:1], v81, s[8:9]
	global_load_b64 v[4:5], v81, s[8:9] offset:440
	global_load_b64 v[6:7], v81, s[8:9] offset:880
	;; [unrolled: 1-line block ×10, first 2 shown]
	v_add_co_u32 v2, s2, v10, v2
	s_wait_alu 0xf1ff
	v_add_co_ci_u32_e64 v3, s2, v11, v3, s2
	s_wait_alu 0xfffe
	s_delay_alu instid0(VALU_DEP_2) | instskip(SKIP_1) | instid1(VALU_DEP_2)
	v_add_co_u32 v10, s2, v2, s4
	s_wait_alu 0xf1ff
	v_add_co_ci_u32_e64 v11, s2, s5, v3, s2
	global_load_b64 v[2:3], v[2:3], off
	v_add_co_u32 v20, s2, v10, s4
	s_wait_alu 0xf1ff
	v_add_co_ci_u32_e64 v21, s2, s5, v11, s2
	s_delay_alu instid0(VALU_DEP_2) | instskip(SKIP_1) | instid1(VALU_DEP_2)
	v_add_co_u32 v28, s2, v20, s4
	s_wait_alu 0xf1ff
	v_add_co_ci_u32_e64 v29, s2, s5, v21, s2
	s_delay_alu instid0(VALU_DEP_2) | instskip(SKIP_1) | instid1(VALU_DEP_2)
	v_add_co_u32 v30, s2, v28, s4
	s_wait_alu 0xf1ff
	v_add_co_ci_u32_e64 v31, s2, s5, v29, s2
	s_clause 0x2
	global_load_b64 v[10:11], v[10:11], off
	global_load_b64 v[20:21], v[20:21], off
	;; [unrolled: 1-line block ×3, first 2 shown]
	v_add_co_u32 v32, s2, v30, s4
	s_wait_alu 0xf1ff
	v_add_co_ci_u32_e64 v33, s2, s5, v31, s2
	global_load_b64 v[30:31], v[30:31], off
	v_add_co_u32 v34, s2, v32, s4
	s_wait_alu 0xf1ff
	v_add_co_ci_u32_e64 v35, s2, s5, v33, s2
	global_load_b64 v[32:33], v[32:33], off
	;; [unrolled: 4-line block ×7, first 2 shown]
	v_add_co_u32 v46, s2, v44, s4
	s_wait_alu 0xf1ff
	v_add_co_ci_u32_e64 v47, s2, s5, v45, s2
	global_load_b64 v[48:49], v81, s[8:9] offset:4840
	global_load_b64 v[44:45], v[44:45], off
	global_load_b64 v[50:51], v81, s[8:9] offset:5280
	global_load_b64 v[46:47], v[46:47], off
	s_wait_loadcnt 0xe
	v_mul_f32_e32 v52, v3, v1
	v_mul_f32_e32 v53, v2, v1
	s_delay_alu instid0(VALU_DEP_2) | instskip(NEXT) | instid1(VALU_DEP_2)
	v_fmac_f32_e32 v52, v2, v0
	v_fma_f32 v53, v3, v0, -v53
	ds_store_b64 v56, v[52:53]
	s_wait_loadcnt 0xd
	v_mul_f32_e32 v1, v11, v5
	s_wait_loadcnt 0xc
	v_dual_mul_f32 v2, v10, v5 :: v_dual_mul_f32 v5, v21, v7
	s_wait_loadcnt 0xb
	v_dual_mul_f32 v7, v20, v7 :: v_dual_mul_f32 v0, v29, v9
	v_add_nc_u32_e32 v55, v83, v81
	v_fmac_f32_e32 v1, v10, v4
	v_fma_f32 v2, v11, v4, -v2
	v_fmac_f32_e32 v5, v20, v6
	v_fma_f32 v6, v21, v6, -v7
	v_mul_f32_e32 v3, v28, v9
	v_fmac_f32_e32 v0, v28, v8
	s_wait_loadcnt 0x9
	v_mul_f32_e32 v4, v33, v15
	v_add_nc_u32_e32 v57, 0x800, v55
	v_add_nc_u32_e32 v20, 0xc00, v55
	s_delay_alu instid0(VALU_DEP_3)
	v_dual_fmac_f32 v4, v32, v14 :: v_dual_add_nc_u32 v21, 0x1000, v55
	ds_store_2addr_b64 v55, v[1:2], v[5:6] offset0:55 offset1:110
	v_mul_f32_e32 v2, v31, v13
	v_fma_f32 v1, v29, v8, -v3
	s_wait_loadcnt 0x8
	v_mul_f32_e32 v6, v35, v17
	s_wait_loadcnt 0x7
	v_dual_mul_f32 v8, v37, v19 :: v_dual_mul_f32 v5, v30, v13
	v_fmac_f32_e32 v2, v30, v12
	v_mul_f32_e32 v7, v34, v17
	v_dual_mul_f32 v9, v36, v19 :: v_dual_fmac_f32 v6, v34, v16
	s_delay_alu instid0(VALU_DEP_4)
	v_fmac_f32_e32 v8, v36, v18
	v_fma_f32 v3, v31, v12, -v5
	v_mul_f32_e32 v5, v32, v15
	s_wait_loadcnt 0x5
	v_dual_mul_f32 v11, v38, v23 :: v_dual_mul_f32 v12, v41, v25
	v_dual_mul_f32 v10, v39, v23 :: v_dual_mul_f32 v13, v40, v25
	s_delay_alu instid0(VALU_DEP_3)
	v_fma_f32 v5, v33, v14, -v5
	v_fma_f32 v7, v35, v16, -v7
	s_wait_loadcnt 0x4
	v_mul_f32_e32 v14, v43, v27
	v_dual_fmac_f32 v12, v40, v24 :: v_dual_mul_f32 v15, v42, v27
	v_fma_f32 v9, v37, v18, -v9
	s_wait_loadcnt 0x0
	v_dual_mul_f32 v16, v45, v49 :: v_dual_mul_f32 v19, v46, v51
	v_dual_mul_f32 v17, v44, v49 :: v_dual_mul_f32 v18, v47, v51
	v_fmac_f32_e32 v10, v38, v22
	v_fma_f32 v11, v39, v22, -v11
	v_fma_f32 v13, v41, v24, -v13
	v_fmac_f32_e32 v14, v42, v26
	v_fma_f32 v15, v43, v26, -v15
	v_fmac_f32_e32 v16, v44, v48
	;; [unrolled: 2-line block ×3, first 2 shown]
	v_fma_f32 v19, v47, v50, -v19
	ds_store_2addr_b64 v55, v[0:1], v[2:3] offset0:165 offset1:220
	ds_store_2addr_b64 v57, v[4:5], v[6:7] offset0:19 offset1:74
	;; [unrolled: 1-line block ×5, first 2 shown]
.LBB0_3:
	s_or_b32 exec_lo, exec_lo, s3
	v_mov_b32_e32 v0, 0
	v_mov_b32_e32 v1, 0
                                        ; kill: def $vgpr2 killed $sgpr0 killed $exec
	global_wb scope:SCOPE_SE
	s_wait_dscnt 0x0
	s_wait_kmcnt 0x0
	s_barrier_signal -1
	s_barrier_wait -1
	global_inv scope:SCOPE_SE
                                        ; implicit-def: $vgpr14
                                        ; implicit-def: $vgpr8
                                        ; implicit-def: $vgpr4
                                        ; implicit-def: $vgpr30
                                        ; implicit-def: $vgpr18
                                        ; implicit-def: $vgpr22
	s_and_saveexec_b32 s2, vcc_lo
	s_cbranch_execz .LBB0_5
; %bb.4:
	v_lshl_add_u32 v24, v54, 3, v81
	s_delay_alu instid0(VALU_DEP_1)
	v_add_nc_u32_e32 v4, 0x400, v24
	v_add_nc_u32_e32 v5, 0x800, v24
	;; [unrolled: 1-line block ×3, first 2 shown]
	ds_load_2addr_b64 v[0:3], v24 offset1:55
	ds_load_2addr_b64 v[20:23], v24 offset0:110 offset1:165
	ds_load_2addr_b64 v[16:19], v4 offset0:92 offset1:147
	;; [unrolled: 1-line block ×5, first 2 shown]
	ds_load_b64 v[30:31], v24 offset:5280
.LBB0_5:
	s_wait_alu 0xfffe
	s_or_b32 exec_lo, exec_lo, s2
	s_wait_dscnt 0x0
	v_dual_sub_f32 v70, v2, v30 :: v_dual_add_f32 v33, v31, v3
	v_dual_sub_f32 v72, v21, v7 :: v_dual_sub_f32 v73, v20, v6
	s_delay_alu instid0(VALU_DEP_2) | instskip(SKIP_1) | instid1(VALU_DEP_3)
	v_dual_sub_f32 v66, v3, v31 :: v_dual_mul_f32 v43, 0xbeedf032, v70
	v_dual_mul_f32 v50, 0xbf52af12, v70 :: v_dual_add_f32 v35, v7, v21
	v_dual_mul_f32 v55, 0xbf6f5d39, v73 :: v_dual_add_f32 v34, v6, v20
	v_mul_f32_e32 v47, 0xbf52af12, v73
	s_delay_alu instid0(VALU_DEP_3)
	v_fma_f32 v27, 0x3f116cb1, v33, -v50
	v_mul_f32_e32 v42, 0xbeedf032, v66
	v_fma_f32 v25, 0x3f62ad3f, v33, -v43
	v_add_f32_e32 v32, v30, v2
	v_fma_f32 v38, 0xbeb58ec6, v35, -v55
	v_add_f32_e32 v27, v27, v1
	v_fma_f32 v36, 0x3f116cb1, v35, -v47
	s_delay_alu instid0(VALU_DEP_4) | instskip(NEXT) | instid1(VALU_DEP_3)
	v_dual_add_f32 v25, v25, v1 :: v_dual_fmamk_f32 v24, v32, 0x3f62ad3f, v42
	v_dual_mul_f32 v46, 0xbf52af12, v72 :: v_dual_add_f32 v27, v38, v27
	v_mul_f32_e32 v49, 0xbf52af12, v66
	s_delay_alu instid0(VALU_DEP_3) | instskip(NEXT) | instid1(VALU_DEP_3)
	v_add_f32_e32 v25, v36, v25
	v_dual_add_f32 v24, v24, v0 :: v_dual_fmamk_f32 v29, v34, 0x3f116cb1, v46
	v_sub_f32_e32 v78, v22, v4
	s_delay_alu instid0(VALU_DEP_4) | instskip(SKIP_2) | instid1(VALU_DEP_3)
	v_fmamk_f32 v26, v32, 0x3f116cb1, v49
	v_sub_f32_e32 v76, v23, v5
	v_dual_sub_f32 v92, v18, v8 :: v_dual_mul_f32 v61, 0xbf7e222b, v66
	v_dual_mul_f32 v51, 0xbf7e222b, v78 :: v_dual_add_f32 v26, v26, v0
	v_dual_mul_f32 v53, 0xbf6f5d39, v72 :: v_dual_add_f32 v36, v4, v22
	s_delay_alu instid0(VALU_DEP_4) | instskip(NEXT) | instid1(VALU_DEP_4)
	v_mul_f32_e32 v57, 0xbe750f2a, v76
	v_fmamk_f32 v28, v32, 0x3df6dbef, v61
	s_delay_alu instid0(VALU_DEP_3) | instskip(SKIP_3) | instid1(VALU_DEP_4)
	v_dual_add_f32 v24, v29, v24 :: v_dual_fmamk_f32 v37, v34, 0xbeb58ec6, v53
	v_dual_mul_f32 v99, 0xbf7e222b, v70 :: v_dual_sub_f32 v94, v13, v15
	v_mul_f32_e32 v60, 0xbf29c268, v92
	v_dual_sub_f32 v100, v12, v14 :: v_dual_mul_f32 v101, 0xbe750f2a, v73
	v_add_f32_e32 v26, v37, v26
	v_dual_add_f32 v37, v5, v23 :: v_dual_add_f32 v28, v28, v0
	v_mul_f32_e32 v93, 0xbf29c268, v94
	v_fma_f32 v77, 0x3df6dbef, v33, -v99
	v_mul_f32_e32 v80, 0x3eedf032, v100
	s_delay_alu instid0(VALU_DEP_4)
	v_fma_f32 v39, 0x3df6dbef, v37, -v51
	v_fma_f32 v85, 0xbf788fa5, v35, -v101
	s_clause 0x1
	s_load_b64 s[4:5], s[0:1], 0x20
	s_load_b64 s[2:3], s[0:1], 0x8
	global_wb scope:SCOPE_SE
	s_wait_kmcnt 0x0
	s_barrier_signal -1
	v_dual_add_f32 v25, v39, v25 :: v_dual_mul_f32 v64, 0xbe750f2a, v72
	v_mul_f32_e32 v59, 0xbe750f2a, v78
	v_sub_f32_e32 v90, v16, v10
	v_dual_fmamk_f32 v40, v36, 0xbf788fa5, v57 :: v_dual_add_f32 v39, v11, v17
	s_delay_alu instid0(VALU_DEP_4) | instskip(NEXT) | instid1(VALU_DEP_4)
	v_fmamk_f32 v29, v34, 0xbf788fa5, v64
	v_fma_f32 v41, 0xbf788fa5, v37, -v59
	v_mul_f32_e32 v48, 0xbf7e222b, v76
	v_dual_mul_f32 v56, 0xbf6f5d39, v90 :: v_dual_sub_f32 v91, v19, v9
	s_delay_alu instid0(VALU_DEP_4) | instskip(NEXT) | instid1(VALU_DEP_3)
	v_add_f32_e32 v28, v29, v28
	v_dual_add_f32 v27, v41, v27 :: v_dual_fmamk_f32 v38, v36, 0x3df6dbef, v48
	v_sub_f32_e32 v89, v17, v11
	s_delay_alu instid0(VALU_DEP_4) | instskip(SKIP_2) | instid1(VALU_DEP_4)
	v_fma_f32 v41, 0xbeb58ec6, v39, -v56
	v_dual_add_f32 v26, v40, v26 :: v_dual_mul_f32 v71, 0x3f6f5d39, v76
	v_mul_f32_e32 v58, 0xbf29c268, v91
	v_mul_f32_e32 v62, 0x3f29c268, v89
	s_delay_alu instid0(VALU_DEP_4)
	v_add_f32_e32 v25, v41, v25
	v_dual_add_f32 v41, v9, v19 :: v_dual_add_f32 v24, v38, v24
	v_dual_mul_f32 v63, 0x3f29c268, v90 :: v_dual_add_f32 v38, v10, v16
	v_fmamk_f32 v29, v36, 0xbeb58ec6, v71
	v_mul_f32_e32 v75, 0x3eedf032, v89
	v_dual_add_f32 v84, v77, v1 :: v_dual_mul_f32 v97, 0x3eedf032, v90
	s_delay_alu instid0(VALU_DEP_4)
	v_fma_f32 v45, 0xbf3f9e67, v39, -v63
	v_mul_f32_e32 v52, 0xbf6f5d39, v89
	v_add_f32_e32 v28, v29, v28
	v_mul_f32_e32 v67, 0x3f7e222b, v92
	v_fmamk_f32 v29, v38, 0x3f62ad3f, v75
	v_add_f32_e32 v27, v45, v27
	v_fma_f32 v45, 0xbf3f9e67, v41, -v60
	v_fmamk_f32 v40, v38, 0xbeb58ec6, v52
	v_fma_f32 v68, 0x3df6dbef, v41, -v67
	v_fmamk_f32 v44, v38, 0xbf3f9e67, v62
	v_dual_add_f32 v28, v29, v28 :: v_dual_mul_f32 v79, 0xbf52af12, v91
	s_delay_alu instid0(VALU_DEP_4) | instskip(SKIP_4) | instid1(VALU_DEP_4)
	v_dual_add_f32 v25, v45, v25 :: v_dual_add_f32 v24, v40, v24
	v_dual_add_f32 v40, v8, v18 :: v_dual_mul_f32 v65, 0x3f7e222b, v91
	v_add_f32_e32 v27, v68, v27
	v_dual_add_f32 v26, v44, v26 :: v_dual_add_f32 v45, v15, v13
	v_dual_mul_f32 v68, 0xbe750f2a, v94 :: v_dual_mul_f32 v69, 0xbe750f2a, v100
	v_fmamk_f32 v29, v40, 0x3df6dbef, v65
	v_mul_f32_e32 v96, 0xbf52af12, v92
	s_delay_alu instid0(VALU_DEP_4) | instskip(SKIP_3) | instid1(VALU_DEP_3)
	v_fma_f32 v102, 0x3f62ad3f, v45, -v80
	v_mul_f32_e32 v98, 0x3f6f5d39, v78
	s_barrier_wait -1
	v_dual_add_f32 v26, v29, v26 :: v_dual_fmamk_f32 v29, v40, 0x3f116cb1, v79
	v_add_f32_e32 v27, v102, v27
	v_fma_f32 v88, 0x3f116cb1, v41, -v96
	global_inv scope:SCOPE_SE
	v_dual_mul_f32 v77, 0x3eedf032, v94 :: v_dual_add_f32 v86, v29, v28
	v_add_f32_e32 v28, v85, v84
	v_fma_f32 v29, 0xbeb58ec6, v37, -v98
	v_fma_f32 v85, 0xbf788fa5, v45, -v69
	s_delay_alu instid0(VALU_DEP_2) | instskip(SKIP_1) | instid1(VALU_DEP_1)
	v_add_f32_e32 v28, v29, v28
	v_fma_f32 v29, 0x3f62ad3f, v39, -v97
	v_dual_fmamk_f32 v44, v40, 0xbf3f9e67, v58 :: v_dual_add_f32 v29, v29, v28
	s_delay_alu instid0(VALU_DEP_1) | instskip(SKIP_2) | instid1(VALU_DEP_2)
	v_add_f32_e32 v24, v44, v24
	v_add_f32_e32 v44, v14, v12
	v_mul_f32_e32 v95, 0xbf29c268, v100
	v_fmamk_f32 v84, v44, 0xbf788fa5, v68
	s_delay_alu instid0(VALU_DEP_1) | instskip(SKIP_1) | instid1(VALU_DEP_4)
	v_add_f32_e32 v28, v84, v24
	v_add_f32_e32 v84, v88, v29
	v_fma_f32 v88, 0xbf3f9e67, v45, -v95
	v_add_f32_e32 v29, v85, v25
	v_fmamk_f32 v87, v44, 0x3f62ad3f, v77
	v_fmamk_f32 v24, v44, 0xbf3f9e67, v93
	s_delay_alu instid0(VALU_DEP_4) | instskip(SKIP_1) | instid1(VALU_DEP_4)
	v_add_f32_e32 v25, v88, v84
	v_mul_lo_u16 v84, v82, 13
	v_add_f32_e32 v26, v87, v26
	s_delay_alu instid0(VALU_DEP_4)
	v_add_f32_e32 v24, v24, v86
	s_and_saveexec_b32 s0, vcc_lo
	s_cbranch_execz .LBB0_7
; %bb.6:
	v_dual_mul_f32 v103, 0x3eedf032, v73 :: v_dual_mul_f32 v106, 0x3eedf032, v72
	v_dual_mul_f32 v104, 0xbf29c268, v78 :: v_dual_mul_f32 v109, 0xbf29c268, v76
	v_mul_f32_e32 v85, 0xbf6f5d39, v92
	v_add_f32_e32 v3, v3, v1
	s_delay_alu instid0(VALU_DEP_4) | instskip(NEXT) | instid1(VALU_DEP_4)
	v_fma_f32 v111, 0x3f62ad3f, v34, -v106
	v_fmamk_f32 v110, v37, 0xbf3f9e67, v104
	v_fmamk_f32 v107, v35, 0x3f62ad3f, v103
	v_mul_f32_e32 v105, 0xbe750f2a, v66
	v_fma_f32 v113, 0xbf3f9e67, v36, -v109
	v_mul_f32_e32 v116, 0xbf29c268, v66
	v_dual_mul_f32 v118, 0xbf52af12, v78 :: v_dual_mul_f32 v121, 0xbf52af12, v76
	s_delay_alu instid0(VALU_DEP_4)
	v_fma_f32 v108, 0xbf788fa5, v32, -v105
	v_mul_f32_e32 v102, 0xbe750f2a, v70
	v_mul_f32_e32 v120, 0x3e750f2a, v90
	;; [unrolled: 1-line block ×5, first 2 shown]
	v_fmamk_f32 v88, v33, 0xbf788fa5, v102
	v_mul_f32_e32 v87, 0x3f52af12, v90
	v_add_f32_e32 v3, v21, v3
	v_fma_f32 v21, 0xbf3f9e67, v32, -v116
	v_mul_f32_e32 v76, 0x3eedf032, v76
	v_add_f32_e32 v88, v88, v1
	v_fmamk_f32 v112, v39, 0x3f116cb1, v87
	s_delay_alu instid0(VALU_DEP_4) | instskip(SKIP_1) | instid1(VALU_DEP_4)
	v_dual_mul_f32 v78, 0x3eedf032, v78 :: v_dual_add_f32 v21, v21, v0
	v_mul_f32_e32 v90, 0xbf7e222b, v90
	v_add_f32_e32 v88, v107, v88
	v_add_f32_e32 v107, v108, v0
	v_mul_f32_e32 v92, 0x3e750f2a, v92
	v_fmac_f32_e32 v105, 0xbf788fa5, v32
	v_fmac_f32_e32 v109, 0xbf3f9e67, v36
	s_delay_alu instid0(VALU_DEP_4) | instskip(SKIP_2) | instid1(VALU_DEP_3)
	v_dual_add_f32 v110, v110, v88 :: v_dual_add_f32 v107, v111, v107
	v_mul_f32_e32 v86, 0x3f7e222b, v100
	v_mul_f32_e32 v88, 0xbf6f5d39, v91
	v_dual_fmamk_f32 v111, v41, 0xbeb58ec6, v85 :: v_dual_add_f32 v110, v112, v110
	s_delay_alu instid0(VALU_DEP_4)
	v_dual_add_f32 v107, v113, v107 :: v_dual_mul_f32 v108, 0x3f52af12, v89
	v_mul_f32_e32 v112, 0xbf29c268, v70
	v_add_f32_e32 v2, v2, v0
	v_mul_f32_e32 v119, 0x3f7e222b, v72
	v_mul_f32_e32 v115, 0x3f7e222b, v94
	v_fma_f32 v114, 0x3f116cb1, v38, -v108
	s_delay_alu instid0(VALU_DEP_4) | instskip(SKIP_2) | instid1(VALU_DEP_4)
	v_dual_fmamk_f32 v113, v33, 0xbf3f9e67, v112 :: v_dual_add_f32 v2, v20, v2
	v_add_f32_e32 v110, v111, v110
	v_fma_f32 v111, 0xbeb58ec6, v40, -v88
	v_dual_add_f32 v107, v114, v107 :: v_dual_mul_f32 v114, 0x3f7e222b, v73
	s_delay_alu instid0(VALU_DEP_4) | instskip(SKIP_2) | instid1(VALU_DEP_4)
	v_dual_add_f32 v20, v113, v1 :: v_dual_add_f32 v117, v22, v2
	v_fma_f32 v22, 0x3df6dbef, v34, -v119
	v_add_f32_e32 v113, v23, v3
	v_fmamk_f32 v2, v35, 0x3df6dbef, v114
	v_fmamk_f32 v3, v45, 0x3df6dbef, v86
	v_add_f32_e32 v23, v111, v107
	v_add_f32_e32 v21, v22, v21
	v_fma_f32 v22, 0x3f116cb1, v36, -v121
	v_add_f32_e32 v2, v2, v20
	v_dual_fmamk_f32 v20, v37, 0x3f116cb1, v118 :: v_dual_add_f32 v3, v3, v110
	v_mul_f32_e32 v107, 0x3e750f2a, v89
	v_fmamk_f32 v110, v45, 0xbeb58ec6, v124
	v_fma_f32 v111, 0x3df6dbef, v44, -v115
	s_delay_alu instid0(VALU_DEP_4) | instskip(SKIP_3) | instid1(VALU_DEP_3)
	v_dual_add_f32 v2, v20, v2 :: v_dual_mul_f32 v123, 0x3eedf032, v91
	v_fmamk_f32 v20, v39, 0xbf788fa5, v120
	v_dual_mul_f32 v73, 0x3f29c268, v73 :: v_dual_mul_f32 v72, 0x3f29c268, v72
	v_mul_f32_e32 v125, 0xbf6f5d39, v70
	v_dual_mul_f32 v89, 0xbf7e222b, v89 :: v_dual_add_f32 v2, v20, v2
	v_add_f32_e32 v20, v22, v21
	v_fmamk_f32 v22, v41, 0x3f62ad3f, v122
	v_fma_f32 v21, 0xbf788fa5, v38, -v107
	v_mul_f32_e32 v91, 0x3e750f2a, v91
	v_fmamk_f32 v70, v35, 0xbf3f9e67, v73
	v_mul_f32_e32 v100, 0x3f52af12, v100
	v_add_f32_e32 v22, v22, v2
	v_add_f32_e32 v2, v111, v23
	v_fma_f32 v23, 0xbeb58ec6, v32, -v66
	v_fma_f32 v111, 0xbf3f9e67, v34, -v72
	v_add_f32_e32 v20, v21, v20
	v_fma_f32 v21, 0x3f62ad3f, v40, -v123
	v_fma_f32 v127, 0xbf788fa5, v40, -v91
	v_add_f32_e32 v23, v23, v0
	v_fmac_f32_e32 v121, 0x3f116cb1, v36
	v_fmac_f32_e32 v123, 0x3f62ad3f, v40
	v_fmac_f32_e32 v91, 0xbf788fa5, v40
	v_fmac_f32_e32 v119, 0x3df6dbef, v34
	v_add_f32_e32 v23, v111, v23
	v_fma_f32 v111, 0x3f62ad3f, v36, -v76
	v_dual_fmac_f32 v107, 0xbf788fa5, v38 :: v_dual_add_f32 v16, v16, v117
	v_fmac_f32_e32 v106, 0x3f62ad3f, v34
	s_delay_alu instid0(VALU_DEP_3) | instskip(SKIP_1) | instid1(VALU_DEP_4)
	v_dual_fmac_f32 v108, 0x3f116cb1, v38 :: v_dual_add_f32 v23, v111, v23
	v_fma_f32 v111, 0x3df6dbef, v38, -v89
	v_dual_add_f32 v16, v18, v16 :: v_dual_fmac_f32 v89, 0x3df6dbef, v38
	v_fmac_f32_e32 v88, 0xbeb58ec6, v40
	s_delay_alu instid0(VALU_DEP_3)
	v_dual_fmac_f32 v116, 0xbf3f9e67, v32 :: v_dual_add_f32 v23, v111, v23
	v_dual_add_f32 v20, v21, v20 :: v_dual_add_f32 v21, v110, v22
	v_fmamk_f32 v22, v33, 0xbeb58ec6, v125
	v_mul_f32_e32 v110, 0xbf6f5d39, v94
	v_mul_f32_e32 v111, 0x3df6dbef, v33
	;; [unrolled: 1-line block ×3, first 2 shown]
	v_add_f32_e32 v12, v12, v16
	v_add_f32_e32 v22, v22, v1
	v_fma_f32 v126, 0xbeb58ec6, v44, -v110
	v_fmac_f32_e32 v115, 0x3df6dbef, v44
	s_delay_alu instid0(VALU_DEP_4) | instskip(NEXT) | instid1(VALU_DEP_4)
	v_add_f32_e32 v12, v14, v12
	v_add_f32_e32 v22, v70, v22
	v_fmamk_f32 v70, v37, 0x3f62ad3f, v78
	s_delay_alu instid0(VALU_DEP_1) | instskip(SKIP_1) | instid1(VALU_DEP_1)
	v_add_f32_e32 v22, v70, v22
	v_fmamk_f32 v70, v39, 0x3df6dbef, v90
	v_add_f32_e32 v22, v70, v22
	v_fmamk_f32 v70, v41, 0xbf788fa5, v92
	s_delay_alu instid0(VALU_DEP_1) | instskip(SKIP_4) | instid1(VALU_DEP_2)
	v_add_f32_e32 v22, v70, v22
	v_add_f32_e32 v70, v99, v111
	v_dual_add_f32 v99, v127, v23 :: v_dual_add_f32 v20, v126, v20
	v_mul_f32_e32 v126, 0xbf788fa5, v35
	v_mul_f32_e32 v111, 0xbeb58ec6, v37
	v_dual_add_f32 v70, v70, v1 :: v_dual_add_f32 v23, v101, v126
	v_mul_f32_e32 v101, 0x3df6dbef, v32
	v_mul_f32_e32 v126, 0xbf788fa5, v34
	v_fmac_f32_e32 v72, 0xbf3f9e67, v34
	s_delay_alu instid0(VALU_DEP_4) | instskip(NEXT) | instid1(VALU_DEP_4)
	v_add_f32_e32 v23, v23, v70
	v_dual_sub_f32 v61, v101, v61 :: v_dual_add_f32 v70, v98, v111
	v_mul_f32_e32 v98, 0x3f62ad3f, v39
	v_sub_f32_e32 v64, v126, v64
	v_mul_f32_e32 v111, 0xbeb58ec6, v36
	s_delay_alu instid0(VALU_DEP_4) | instskip(SKIP_2) | instid1(VALU_DEP_4)
	v_add_f32_e32 v61, v61, v0
	v_dual_fmamk_f32 v101, v45, 0x3f116cb1, v100 :: v_dual_add_f32 v70, v70, v23
	v_add_f32_e32 v97, v97, v98
	v_sub_f32_e32 v71, v111, v71
	s_delay_alu instid0(VALU_DEP_4) | instskip(NEXT) | instid1(VALU_DEP_4)
	v_dual_add_f32 v61, v64, v61 :: v_dual_mul_f32 v98, 0x3f62ad3f, v38
	v_add_f32_e32 v23, v101, v22
	s_delay_alu instid0(VALU_DEP_4) | instskip(SKIP_1) | instid1(VALU_DEP_4)
	v_add_f32_e32 v22, v97, v70
	v_mul_f32_e32 v64, 0x3f116cb1, v41
	v_dual_add_f32 v61, v71, v61 :: v_dual_sub_f32 v70, v98, v75
	v_mul_f32_e32 v71, 0x3f116cb1, v40
	v_fma_f32 v75, 0x3f116cb1, v44, -v94
	v_fmac_f32_e32 v66, 0xbeb58ec6, v32
	s_delay_alu instid0(VALU_DEP_4) | instskip(NEXT) | instid1(VALU_DEP_4)
	v_dual_fmac_f32 v76, 0x3f62ad3f, v36 :: v_dual_add_f32 v61, v70, v61
	v_dual_sub_f32 v70, v71, v79 :: v_dual_mul_f32 v71, 0xbf3f9e67, v44
	s_delay_alu instid0(VALU_DEP_1) | instskip(NEXT) | instid1(VALU_DEP_2)
	v_dual_fmac_f32 v110, 0xbeb58ec6, v44 :: v_dual_add_f32 v61, v70, v61
	v_sub_f32_e32 v70, v71, v93
	s_delay_alu instid0(VALU_DEP_1) | instskip(NEXT) | instid1(VALU_DEP_1)
	v_dual_add_f32 v70, v70, v61 :: v_dual_mul_f32 v61, 0xbeb58ec6, v34
	v_dual_sub_f32 v53, v61, v53 :: v_dual_add_f32 v64, v96, v64
	v_mul_f32_e32 v96, 0xbf3f9e67, v45
	s_delay_alu instid0(VALU_DEP_2) | instskip(SKIP_1) | instid1(VALU_DEP_2)
	v_dual_mul_f32 v61, 0x3f62ad3f, v32 :: v_dual_add_f32 v64, v64, v22
	v_dual_add_f32 v22, v75, v99 :: v_dual_mul_f32 v75, 0x3f116cb1, v33
	v_dual_add_f32 v79, v95, v96 :: v_dual_sub_f32 v42, v61, v42
	s_delay_alu instid0(VALU_DEP_2) | instskip(SKIP_1) | instid1(VALU_DEP_2)
	v_add_f32_e32 v50, v50, v75
	v_mul_f32_e32 v75, 0xbeb58ec6, v35
	v_dual_add_f32 v71, v79, v64 :: v_dual_add_f32 v50, v50, v1
	s_delay_alu instid0(VALU_DEP_2) | instskip(SKIP_2) | instid1(VALU_DEP_3)
	v_add_f32_e32 v55, v55, v75
	v_mul_f32_e32 v75, 0x3f62ad3f, v44
	v_fmac_f32_e32 v94, 0x3f116cb1, v44
	v_dual_add_f32 v50, v55, v50 :: v_dual_mul_f32 v55, 0xbf788fa5, v36
	s_delay_alu instid0(VALU_DEP_1) | instskip(SKIP_3) | instid1(VALU_DEP_4)
	v_dual_sub_f32 v55, v55, v57 :: v_dual_mul_f32 v64, 0x3f116cb1, v32
	v_mul_f32_e32 v57, 0x3f116cb1, v34
	v_sub_f32_e32 v75, v75, v77
	v_mul_f32_e32 v77, 0xbf788fa5, v44
	v_sub_f32_e32 v49, v64, v49
	s_delay_alu instid0(VALU_DEP_1) | instskip(NEXT) | instid1(VALU_DEP_1)
	v_dual_mul_f32 v64, 0xbf788fa5, v37 :: v_dual_add_f32 v49, v49, v0
	v_dual_add_f32 v59, v59, v64 :: v_dual_mul_f32 v64, 0x3f62ad3f, v33
	s_delay_alu instid0(VALU_DEP_2) | instskip(SKIP_1) | instid1(VALU_DEP_3)
	v_add_f32_e32 v49, v53, v49
	v_mul_f32_e32 v53, 0xbf3f9e67, v39
	v_dual_add_f32 v43, v43, v64 :: v_dual_mul_f32 v64, 0xbf3f9e67, v41
	v_add_f32_e32 v17, v17, v113
	s_delay_alu instid0(VALU_DEP_4) | instskip(SKIP_1) | instid1(VALU_DEP_4)
	v_add_f32_e32 v49, v55, v49
	v_mul_f32_e32 v55, 0x3df6dbef, v41
	v_dual_add_f32 v53, v63, v53 :: v_dual_add_f32 v16, v60, v64
	v_mul_f32_e32 v63, 0x3f116cb1, v35
	v_add_f32_e32 v43, v43, v1
	s_delay_alu instid0(VALU_DEP_4)
	v_add_f32_e32 v55, v67, v55
	v_dual_mul_f32 v67, 0x3df6dbef, v37 :: v_dual_add_f32 v50, v59, v50
	v_mul_f32_e32 v59, 0xbf3f9e67, v38
	v_add_f32_e32 v47, v47, v63
	v_add_f32_e32 v17, v19, v17
	v_dual_add_f32 v19, v42, v0 :: v_dual_sub_f32 v42, v57, v46
	s_delay_alu instid0(VALU_DEP_4) | instskip(NEXT) | instid1(VALU_DEP_3)
	v_dual_sub_f32 v59, v59, v62 :: v_dual_mul_f32 v62, 0x3df6dbef, v36
	v_add_f32_e32 v13, v13, v17
	s_delay_alu instid0(VALU_DEP_3) | instskip(NEXT) | instid1(VALU_DEP_3)
	v_dual_mul_f32 v63, 0xbf788fa5, v45 :: v_dual_add_f32 v18, v42, v19
	v_add_f32_e32 v49, v59, v49
	v_dual_mul_f32 v59, 0x3f62ad3f, v45 :: v_dual_add_f32 v50, v53, v50
	v_mul_f32_e32 v53, 0x3df6dbef, v40
	v_add_f32_e32 v13, v15, v13
	v_sub_f32_e32 v19, v62, v48
	s_delay_alu instid0(VALU_DEP_4) | instskip(NEXT) | instid1(VALU_DEP_4)
	v_dual_add_f32 v59, v80, v59 :: v_dual_add_f32 v50, v55, v50
	v_sub_f32_e32 v53, v53, v65
	s_delay_alu instid0(VALU_DEP_4) | instskip(SKIP_1) | instid1(VALU_DEP_4)
	v_add_f32_e32 v9, v9, v13
	v_mul_f32_e32 v65, 0xbeb58ec6, v38
	v_dual_mul_f32 v55, 0xbeb58ec6, v39 :: v_dual_add_f32 v50, v59, v50
	s_delay_alu instid0(VALU_DEP_4)
	v_add_f32_e32 v49, v53, v49
	v_mul_f32_e32 v53, 0xbf3f9e67, v40
	v_add_f32_e32 v9, v11, v9
	v_add_f32_e32 v11, v8, v12
	v_sub_f32_e32 v13, v65, v52
	v_add_f32_e32 v49, v75, v49
	v_add_f32_e32 v43, v47, v43
	;; [unrolled: 1-line block ×5, first 2 shown]
	v_fma_f32 v10, 0xbf788fa5, v33, -v102
	s_delay_alu instid0(VALU_DEP_2) | instskip(NEXT) | instid1(VALU_DEP_2)
	v_dual_add_f32 v43, v47, v43 :: v_dual_add_f32 v4, v4, v9
	v_add_f32_e32 v9, v10, v1
	v_fma_f32 v10, 0x3f62ad3f, v35, -v103
	s_delay_alu instid0(VALU_DEP_3) | instskip(NEXT) | instid1(VALU_DEP_2)
	v_dual_add_f32 v17, v56, v55 :: v_dual_add_f32 v4, v6, v4
	v_add_f32_e32 v6, v10, v9
	v_fma_f32 v9, 0xbf3f9e67, v37, -v104
	s_delay_alu instid0(VALU_DEP_3) | instskip(SKIP_1) | instid1(VALU_DEP_3)
	v_dual_add_f32 v15, v17, v43 :: v_dual_add_f32 v4, v30, v4
	v_add_f32_e32 v17, v19, v18
	v_add_f32_e32 v6, v9, v6
	v_fma_f32 v9, 0x3f116cb1, v39, -v87
	s_delay_alu instid0(VALU_DEP_4) | instskip(NEXT) | instid1(VALU_DEP_4)
	v_add_f32_e32 v14, v16, v15
	v_add_f32_e32 v12, v13, v17
	v_sub_f32_e32 v13, v53, v58
	v_add_f32_e32 v15, v69, v63
	v_add_f32_e32 v6, v9, v6
	;; [unrolled: 1-line block ×3, first 2 shown]
	v_fma_f32 v9, 0xbeb58ec6, v41, -v85
	v_add_f32_e32 v11, v13, v12
	v_sub_f32_e32 v12, v77, v68
	v_add_f32_e32 v8, v15, v14
	v_add_f32_e32 v10, v106, v10
	;; [unrolled: 1-line block ×3, first 2 shown]
	v_fma_f32 v9, 0x3df6dbef, v45, -v86
	v_and_b32_e32 v14, 0xffff, v84
	v_fma_f32 v15, 0x3f116cb1, v45, -v100
	v_add_f32_e32 v10, v109, v10
	s_delay_alu instid0(VALU_DEP_3) | instskip(NEXT) | instid1(VALU_DEP_2)
	v_add_lshl_u32 v14, v54, v14, 3
	v_add_f32_e32 v13, v108, v10
	v_add_f32_e32 v10, v9, v6
	s_delay_alu instid0(VALU_DEP_2)
	v_add_f32_e32 v6, v88, v13
	v_add_f32_e32 v13, v116, v0
	v_dual_add_f32 v0, v66, v0 :: v_dual_add_f32 v5, v7, v5
	v_add_f32_e32 v7, v12, v11
	v_fma_f32 v11, 0xbf3f9e67, v33, -v112
	v_add_f32_e32 v9, v115, v6
	v_fma_f32 v6, 0xbeb58ec6, v33, -v125
	v_dual_add_f32 v5, v31, v5 :: v_dual_add_f32 v0, v72, v0
	s_delay_alu instid0(VALU_DEP_4) | instskip(SKIP_1) | instid1(VALU_DEP_4)
	v_add_f32_e32 v11, v11, v1
	v_fma_f32 v12, 0x3df6dbef, v35, -v114
	v_add_f32_e32 v1, v6, v1
	v_fma_f32 v6, 0xbf3f9e67, v35, -v73
	v_add_f32_e32 v0, v76, v0
	s_delay_alu instid0(VALU_DEP_4) | instskip(SKIP_1) | instid1(VALU_DEP_4)
	v_add_f32_e32 v11, v12, v11
	v_fma_f32 v12, 0x3f116cb1, v37, -v118
	v_add_f32_e32 v1, v6, v1
	v_fma_f32 v6, 0x3f62ad3f, v37, -v78
	s_delay_alu instid0(VALU_DEP_3) | instskip(SKIP_1) | instid1(VALU_DEP_3)
	v_dual_add_f32 v0, v89, v0 :: v_dual_add_f32 v11, v12, v11
	v_fma_f32 v12, 0xbf788fa5, v39, -v120
	v_add_f32_e32 v1, v6, v1
	v_fma_f32 v6, 0x3df6dbef, v39, -v90
	s_delay_alu instid0(VALU_DEP_3) | instskip(SKIP_1) | instid1(VALU_DEP_3)
	v_dual_add_f32 v16, v91, v0 :: v_dual_add_f32 v11, v12, v11
	v_fma_f32 v12, 0x3f62ad3f, v41, -v122
	v_add_f32_e32 v1, v6, v1
	v_fma_f32 v6, 0xbf788fa5, v41, -v92
	s_delay_alu instid0(VALU_DEP_1) | instskip(SKIP_2) | instid1(VALU_DEP_2)
	v_dual_add_f32 v11, v12, v11 :: v_dual_add_f32 v6, v6, v1
	v_add_f32_e32 v12, v119, v13
	v_fma_f32 v13, 0xbeb58ec6, v45, -v124
	v_add_f32_e32 v12, v121, v12
	s_delay_alu instid0(VALU_DEP_2) | instskip(SKIP_1) | instid1(VALU_DEP_3)
	v_add_f32_e32 v1, v13, v11
	v_add_f32_e32 v11, v94, v16
	;; [unrolled: 1-line block ×3, first 2 shown]
	s_delay_alu instid0(VALU_DEP_1) | instskip(NEXT) | instid1(VALU_DEP_1)
	v_add_f32_e32 v12, v123, v12
	v_add_f32_e32 v0, v110, v12
	;; [unrolled: 1-line block ×3, first 2 shown]
	ds_store_2addr_b64 v14, v[4:5], v[7:8] offset1:1
	ds_store_2addr_b64 v14, v[49:50], v[70:71] offset0:2 offset1:3
	ds_store_2addr_b64 v14, v[22:23], v[20:21] offset0:4 offset1:5
	;; [unrolled: 1-line block ×5, first 2 shown]
	ds_store_b64 v14, v[28:29] offset:96
.LBB0_7:
	s_wait_alu 0xfffe
	s_or_b32 exec_lo, exec_lo, s0
	v_add_lshl_u32 v85, v54, v82, 3
	global_wb scope:SCOPE_SE
	s_wait_dscnt 0x0
	s_barrier_signal -1
	s_barrier_wait -1
	global_inv scope:SCOPE_SE
	v_add_nc_u32_e32 v0, 0x800, v85
	v_add_nc_u32_e32 v1, 0x1000, v85
	v_cmp_gt_u16_e64 s0, 13, v82
	ds_load_2addr_b64 v[32:35], v85 offset1:65
	ds_load_2addr_b64 v[48:51], v85 offset0:143 offset1:208
	ds_load_2addr_b64 v[44:47], v0 offset0:30 offset1:95
	;; [unrolled: 1-line block ×4, first 2 shown]
                                        ; implicit-def: $vgpr52
	s_and_saveexec_b32 s1, s0
	s_cbranch_execz .LBB0_9
; %bb.8:
	v_add_nc_u32_e32 v0, 0x400, v85
	v_add_nc_u32_e32 v1, 0xc00, v85
	ds_load_2addr_b64 v[24:27], v0 offset0:2 offset1:145
	ds_load_2addr_b64 v[28:31], v1 offset0:32 offset1:175
	ds_load_b64 v[52:53], v85 offset:5616
.LBB0_9:
	s_wait_alu 0xfffe
	s_or_b32 exec_lo, exec_lo, s1
	v_and_b32_e32 v0, 0xff, v82
	v_add_nc_u16 v3, v82, 0x82
	s_delay_alu instid0(VALU_DEP_2) | instskip(NEXT) | instid1(VALU_DEP_1)
	v_mul_lo_u16 v0, 0x4f, v0
	v_lshrrev_b16 v55, 10, v0
	v_add_nc_u16 v0, v82, 0x41
	s_delay_alu instid0(VALU_DEP_2) | instskip(NEXT) | instid1(VALU_DEP_2)
	v_mul_lo_u16 v1, v55, 13
	v_and_b32_e32 v2, 0xff, v0
	s_delay_alu instid0(VALU_DEP_2) | instskip(NEXT) | instid1(VALU_DEP_2)
	v_sub_nc_u16 v1, v82, v1
	v_mul_lo_u16 v2, 0x4f, v2
	s_delay_alu instid0(VALU_DEP_2) | instskip(NEXT) | instid1(VALU_DEP_2)
	v_and_b32_e32 v56, 0xff, v1
	v_lshrrev_b16 v57, 10, v2
	s_delay_alu instid0(VALU_DEP_2) | instskip(NEXT) | instid1(VALU_DEP_2)
	v_lshlrev_b32_e32 v2, 5, v56
	v_mul_lo_u16 v4, v57, 13
	s_clause 0x1
	global_load_b128 v[20:23], v2, s[2:3]
	global_load_b128 v[12:15], v2, s[2:3] offset:16
	v_sub_nc_u16 v0, v0, v4
	v_and_b32_e32 v55, 0xffff, v55
	v_and_b32_e32 v57, 0xffff, v57
	;; [unrolled: 1-line block ×3, first 2 shown]
	s_delay_alu instid0(VALU_DEP_4)
	v_and_b32_e32 v58, 0xff, v0
	s_wait_loadcnt_dscnt 0x1
	v_mul_f32_e32 v60, v40, v13
	v_mul_u32_u24_e32 v55, 0x41, v55
	s_wait_dscnt 0x0
	v_mul_f32_e32 v62, v36, v15
	v_mul_u32_u24_e32 v57, 0x41, v57
	v_mul_f32_e32 v61, v37, v15
	v_mul_f32_e32 v59, v41, v13
	v_add_nc_u32_e32 v55, v55, v56
	s_delay_alu instid0(VALU_DEP_4) | instskip(SKIP_1) | instid1(VALU_DEP_2)
	v_add_nc_u32_e32 v56, v57, v58
	v_mul_f32_e32 v57, v45, v23
	v_add_lshl_u32 v87, v54, v56, 3
	v_mul_f32_e32 v56, v48, v21
	v_mul_lo_u16 v1, 0x4f, v1
	s_delay_alu instid0(VALU_DEP_1) | instskip(NEXT) | instid1(VALU_DEP_1)
	v_lshrrev_b16 v1, 10, v1
	v_mul_lo_u16 v0, v1, 13
	v_dual_mul_f32 v58, v44, v23 :: v_dual_lshlrev_b32 v1, 5, v58
	v_fma_f32 v44, v44, v22, -v57
	s_delay_alu instid0(VALU_DEP_3)
	v_sub_nc_u16 v65, v3, v0
	s_clause 0x1
	global_load_b128 v[16:19], v1, s[2:3]
	global_load_b128 v[8:11], v1, s[2:3] offset:16
	v_fmac_f32_e32 v62, v37, v14
	v_fmac_f32_e32 v58, v45, v22
	v_lshlrev_b16 v0, 2, v65
	v_add_lshl_u32 v88, v54, v55, 3
	v_mul_f32_e32 v55, v49, v21
	v_fmac_f32_e32 v56, v49, v20
	v_fma_f32 v45, v40, v12, -v59
	v_and_b32_e32 v0, 0xfc, v0
	v_fma_f32 v49, v36, v14, -v61
	v_fma_f32 v48, v48, v20, -v55
	s_delay_alu instid0(VALU_DEP_1)
	v_dual_sub_f32 v72, v45, v49 :: v_dual_sub_f32 v71, v44, v48
	v_add_f32_e32 v59, v32, v48
	v_sub_f32_e32 v69, v49, v45
	s_wait_loadcnt 0x1
	v_dual_mul_f32 v37, v47, v19 :: v_dual_lshlrev_b32 v0, 3, v0
	v_mul_f32_e32 v57, v46, v19
	s_clause 0x1
	global_load_b128 v[4:7], v0, s[2:3]
	global_load_b128 v[0:3], v0, s[2:3] offset:16
	v_dual_fmac_f32 v60, v41, v12 :: v_dual_fmac_f32 v57, v47, v18
	v_mul_f32_e32 v36, v51, v17
	v_mul_f32_e32 v41, v50, v17
	s_wait_loadcnt 0x2
	v_mul_f32_e32 v40, v43, v9
	v_mul_f32_e32 v63, v42, v9
	v_mul_f32_e32 v55, v39, v11
	v_dual_mul_f32 v64, v38, v11 :: v_dual_fmac_f32 v41, v51, v16
	v_fma_f32 v46, v46, v18, -v37
	s_delay_alu instid0(VALU_DEP_4)
	v_fmac_f32_e32 v63, v43, v8
	v_fma_f32 v47, v42, v8, -v40
	v_fma_f32 v43, v38, v10, -v55
	v_dual_fmac_f32 v64, v39, v10 :: v_dual_add_f32 v61, v44, v45
	v_sub_f32_e32 v78, v62, v60
	v_dual_sub_f32 v66, v56, v62 :: v_dual_add_f32 v73, v33, v56
	v_dual_add_f32 v70, v48, v49 :: v_dual_add_f32 v75, v58, v60
	v_sub_f32_e32 v77, v56, v58
	v_dual_add_f32 v79, v56, v62 :: v_dual_sub_f32 v56, v58, v56
	v_sub_f32_e32 v68, v48, v44
	v_dual_sub_f32 v80, v60, v62 :: v_dual_sub_f32 v67, v58, v60
	s_load_b128 s[4:7], s[4:5], 0x0
	global_wb scope:SCOPE_SE
	s_wait_loadcnt 0x0
	s_wait_kmcnt 0x0
	s_barrier_signal -1
	s_barrier_wait -1
	global_inv scope:SCOPE_SE
	v_sub_f32_e32 v89, v57, v41
	v_mul_f32_e32 v40, v27, v5
	v_dual_mul_f32 v39, v26, v5 :: v_dual_mul_f32 v42, v29, v7
	v_dual_mul_f32 v51, v31, v1 :: v_dual_mul_f32 v38, v28, v7
	v_mul_f32_e32 v37, v30, v1
	v_mul_f32_e32 v55, v53, v3
	v_fma_f32 v50, v50, v16, -v36
	v_mul_f32_e32 v36, v52, v3
	v_dual_sub_f32 v48, v48, v49 :: v_dual_fmac_f32 v39, v27, v4
	v_dual_sub_f32 v76, v44, v45 :: v_dual_fmac_f32 v37, v31, v0
	v_fma_f32 v40, v26, v4, -v40
	v_fma_f32 v28, v28, v6, -v42
	v_fmac_f32_e32 v38, v29, v6
	v_fma_f32 v27, v30, v0, -v51
	v_add_f32_e32 v51, v68, v69
	v_fma_f32 v26, v52, v2, -v55
	v_add_f32_e32 v42, v59, v44
	v_fma_f32 v29, -0.5, v61, v32
	v_fma_f32 v31, -0.5, v70, v32
	v_dual_add_f32 v68, v71, v72 :: v_dual_add_f32 v55, v34, v50
	v_dual_add_f32 v44, v73, v58 :: v_dual_sub_f32 v59, v43, v47
	v_fma_f32 v30, -0.5, v75, v33
	v_add_f32_e32 v69, v77, v78
	v_fma_f32 v32, -0.5, v79, v33
	v_sub_f32_e32 v71, v57, v63
	v_dual_fmac_f32 v36, v53, v2 :: v_dual_add_f32 v33, v56, v80
	v_dual_add_f32 v56, v46, v47 :: v_dual_add_f32 v75, v35, v41
	v_dual_sub_f32 v72, v46, v50 :: v_dual_add_f32 v77, v57, v63
	v_sub_f32_e32 v78, v46, v47
	v_add_f32_e32 v86, v41, v64
	v_sub_f32_e32 v90, v63, v64
	v_dual_sub_f32 v70, v41, v64 :: v_dual_add_f32 v61, v50, v43
	v_dual_sub_f32 v58, v50, v46 :: v_dual_sub_f32 v73, v47, v43
	v_dual_sub_f32 v50, v50, v43 :: v_dual_sub_f32 v79, v41, v57
	v_dual_sub_f32 v80, v64, v63 :: v_dual_add_f32 v45, v42, v45
	v_fmamk_f32 v41, v66, 0x3f737871, v29
	v_fmac_f32_e32 v29, 0xbf737871, v66
	v_dual_fmamk_f32 v52, v67, 0xbf737871, v31 :: v_dual_add_f32 v91, v58, v59
	v_dual_fmac_f32 v31, 0x3f737871, v67 :: v_dual_add_f32 v44, v44, v60
	v_fmamk_f32 v42, v48, 0xbf737871, v30
	v_fmac_f32_e32 v30, 0x3f737871, v48
	v_dual_fmamk_f32 v53, v76, 0x3f737871, v32 :: v_dual_add_f32 v46, v55, v46
	v_fmac_f32_e32 v32, 0xbf737871, v76
	v_fma_f32 v55, -0.5, v56, v34
	v_add_f32_e32 v60, v75, v57
	v_fma_f32 v56, -0.5, v77, v35
	v_add_f32_e32 v77, v28, v27
	v_fmac_f32_e32 v35, -0.5, v86
	v_add_f32_e32 v75, v89, v90
	v_dual_add_f32 v90, v40, v26 :: v_dual_add_f32 v99, v39, v36
	v_dual_add_f32 v94, v38, v37 :: v_dual_sub_f32 v95, v40, v26
	v_fma_f32 v34, -0.5, v61, v34
	v_dual_add_f32 v72, v72, v73 :: v_dual_add_f32 v73, v79, v80
	v_dual_sub_f32 v79, v39, v36 :: v_dual_sub_f32 v80, v38, v37
	v_dual_sub_f32 v93, v27, v26 :: v_dual_sub_f32 v92, v28, v40
	;; [unrolled: 1-line block ×4, first 2 shown]
	v_fmac_f32_e32 v41, 0x3f167918, v67
	v_dual_sub_f32 v100, v38, v39 :: v_dual_add_f32 v57, v45, v49
	v_dual_fmac_f32 v29, 0xbf167918, v67 :: v_dual_add_f32 v58, v44, v62
	v_dual_fmac_f32 v52, 0x3f167918, v66 :: v_dual_add_f32 v49, v60, v63
	v_fmac_f32_e32 v53, 0xbf167918, v48
	v_fmac_f32_e32 v32, 0x3f167918, v48
	v_add_f32_e32 v48, v46, v47
	v_fmamk_f32 v62, v78, 0x3f737871, v35
	v_dual_fmac_f32 v35, 0xbf737871, v78 :: v_dual_add_f32 v64, v49, v64
	v_fma_f32 v46, -0.5, v77, v24
	v_fma_f32 v44, -0.5, v90, v24
	;; [unrolled: 1-line block ×4, first 2 shown]
	v_dual_sub_f32 v86, v40, v28 :: v_dual_sub_f32 v89, v26, v27
	v_dual_fmac_f32 v31, 0xbf167918, v66 :: v_dual_fmac_f32 v42, 0xbf167918, v76
	v_dual_fmac_f32 v30, 0x3f167918, v76 :: v_dual_add_f32 v67, v92, v93
	v_fmamk_f32 v59, v70, 0x3f737871, v55
	v_dual_fmac_f32 v55, 0xbf737871, v70 :: v_dual_fmamk_f32 v60, v50, 0xbf737871, v56
	v_dual_fmamk_f32 v61, v71, 0xbf737871, v34 :: v_dual_add_f32 v66, v86, v89
	v_dual_fmac_f32 v56, 0x3f737871, v50 :: v_dual_add_f32 v63, v48, v43
	v_dual_add_f32 v76, v97, v98 :: v_dual_fmac_f32 v41, 0x3e9e377a, v51
	v_dual_fmac_f32 v29, 0x3e9e377a, v51 :: v_dual_fmac_f32 v52, 0x3e9e377a, v68
	v_fmac_f32_e32 v35, 0x3f167918, v50
	v_fmamk_f32 v48, v79, 0x3f737871, v46
	v_dual_fmac_f32 v46, 0xbf737871, v79 :: v_dual_fmamk_f32 v49, v95, 0xbf737871, v47
	v_fmac_f32_e32 v47, 0x3f737871, v95
	v_fmamk_f32 v51, v96, 0x3f737871, v45
	v_fmac_f32_e32 v62, 0xbf167918, v50
	v_dual_fmamk_f32 v50, v80, 0xbf737871, v44 :: v_dual_fmac_f32 v45, 0xbf737871, v96
	v_fmac_f32_e32 v44, 0x3f737871, v80
	v_dual_fmac_f32 v34, 0x3f737871, v71 :: v_dual_add_f32 v77, v100, v101
	v_dual_fmac_f32 v61, 0x3f167918, v70 :: v_dual_fmac_f32 v48, 0x3f167918, v80
	v_dual_fmac_f32 v60, 0xbf167918, v78 :: v_dual_fmac_f32 v49, 0xbf167918, v96
	v_fmac_f32_e32 v46, 0xbf167918, v80
	v_fmac_f32_e32 v50, 0x3f167918, v79
	;; [unrolled: 1-line block ×6, first 2 shown]
	v_dual_fmac_f32 v59, 0x3f167918, v71 :: v_dual_fmac_f32 v56, 0x3f167918, v78
	v_dual_fmac_f32 v55, 0xbf167918, v71 :: v_dual_fmac_f32 v34, 0xbf167918, v70
	;; [unrolled: 1-line block ×3, first 2 shown]
	s_delay_alu instid0(VALU_DEP_3)
	v_dual_fmac_f32 v30, 0x3e9e377a, v69 :: v_dual_fmac_f32 v59, 0x3e9e377a, v91
	v_dual_fmac_f32 v62, 0x3e9e377a, v75 :: v_dual_fmac_f32 v49, 0x3e9e377a, v76
	v_dual_fmac_f32 v48, 0x3e9e377a, v66 :: v_dual_fmac_f32 v47, 0x3e9e377a, v76
	v_dual_fmac_f32 v46, 0x3e9e377a, v66 :: v_dual_fmac_f32 v51, 0x3e9e377a, v77
	v_dual_fmac_f32 v50, 0x3e9e377a, v67 :: v_dual_fmac_f32 v45, 0x3e9e377a, v77
	v_fmac_f32_e32 v44, 0x3e9e377a, v67
	v_and_b32_e32 v89, 0xff, v65
	v_dual_fmac_f32 v53, 0x3e9e377a, v33 :: v_dual_fmac_f32 v34, 0x3e9e377a, v72
	v_dual_fmac_f32 v32, 0x3e9e377a, v33 :: v_dual_fmac_f32 v55, 0x3e9e377a, v91
	;; [unrolled: 1-line block ×4, first 2 shown]
	ds_store_2addr_b64 v88, v[57:58], v[41:42] offset1:13
	ds_store_2addr_b64 v88, v[52:53], v[31:32] offset0:26 offset1:39
	ds_store_b64 v88, v[29:30] offset:416
	ds_store_2addr_b64 v87, v[63:64], v[59:60] offset1:13
	ds_store_2addr_b64 v87, v[61:62], v[34:35] offset0:26 offset1:39
	ds_store_b64 v87, v[55:56] offset:416
	s_and_saveexec_b32 s1, s0
	s_cbranch_execz .LBB0_11
; %bb.10:
	v_dual_add_f32 v25, v25, v39 :: v_dual_add_f32 v24, v24, v40
	s_delay_alu instid0(VALU_DEP_1) | instskip(SKIP_1) | instid1(VALU_DEP_2)
	v_dual_add_f32 v25, v25, v38 :: v_dual_add_f32 v24, v24, v28
	v_add_lshl_u32 v28, v54, v89, 3
	v_dual_add_f32 v25, v25, v37 :: v_dual_add_f32 v24, v24, v27
	s_delay_alu instid0(VALU_DEP_2) | instskip(NEXT) | instid1(VALU_DEP_2)
	v_add_nc_u32_e32 v27, 0x1000, v28
	v_dual_add_f32 v25, v25, v36 :: v_dual_add_f32 v24, v24, v26
	ds_store_2addr_b64 v27, v[50:51], v[44:45] offset0:164 offset1:177
	ds_store_2addr_b64 v27, v[24:25], v[48:49] offset0:138 offset1:151
	ds_store_b64 v28, v[46:47] offset:5616
.LBB0_11:
	s_wait_alu 0xfffe
	s_or_b32 exec_lo, exec_lo, s1
	v_mad_co_u64_u32 v[32:33], null, 0x50, v82, s[2:3]
	global_wb scope:SCOPE_SE
	s_wait_dscnt 0x0
	s_barrier_signal -1
	s_barrier_wait -1
	global_inv scope:SCOPE_SE
	v_lshl_add_u32 v86, v82, 3, v83
	s_clause 0x4
	global_load_b128 v[40:43], v[32:33], off offset:416
	global_load_b128 v[36:39], v[32:33], off offset:432
	global_load_b128 v[28:31], v[32:33], off offset:448
	global_load_b128 v[24:27], v[32:33], off offset:464
	global_load_b128 v[32:35], v[32:33], off offset:480
	v_add_nc_u32_e32 v56, 0x800, v85
	ds_load_2addr_b64 v[52:55], v85 offset1:65
	v_add_nc_u32_e32 v75, 0x400, v86
	ds_load_2addr_b64 v[64:67], v85 offset0:130 offset1:195
	ds_load_2addr_b64 v[60:63], v56 offset0:4 offset1:69
	v_add_nc_u32_e32 v68, 0x1000, v85
	v_add_nc_u32_e32 v76, 0x800, v86
	;; [unrolled: 1-line block ×3, first 2 shown]
	s_wait_loadcnt_dscnt 0x401
	v_dual_mul_f32 v91, v64, v43 :: v_dual_add_nc_u32 v80, 0x1000, v86
	s_wait_loadcnt 0x3
	v_mul_f32_e32 v93, v66, v37
	ds_load_2addr_b64 v[56:59], v56 offset0:134 offset1:199
	s_wait_dscnt 0x1
	v_mul_f32_e32 v95, v60, v39
	ds_load_2addr_b64 v[68:71], v68 offset0:8 offset1:73
	ds_load_b64 v[72:73], v85 offset:5200
	v_mul_f32_e32 v77, v55, v41
	v_mul_f32_e32 v78, v54, v41
	;; [unrolled: 1-line block ×4, first 2 shown]
	s_wait_loadcnt 0x2
	v_dual_mul_f32 v94, v61, v39 :: v_dual_mul_f32 v97, v62, v29
	v_mul_f32_e32 v96, v63, v29
	v_fma_f32 v54, v54, v40, -v77
	v_dual_fmac_f32 v78, v55, v40 :: v_dual_fmac_f32 v95, v61, v38
	v_fma_f32 v55, v64, v42, -v90
	v_fmac_f32_e32 v97, v63, v28
	v_fma_f32 v60, v60, v38, -v94
	v_fmac_f32_e32 v91, v65, v42
	v_fmac_f32_e32 v93, v67, v36
	s_wait_loadcnt_dscnt 0x102
	v_dual_mul_f32 v99, v56, v31 :: v_dual_mul_f32 v100, v59, v25
	s_wait_loadcnt_dscnt 0x0
	v_mul_f32_e32 v107, v72, v35
	v_dual_mul_f32 v102, v69, v27 :: v_dual_mul_f32 v105, v70, v33
	v_mul_f32_e32 v106, v73, v35
	v_dual_mul_f32 v98, v57, v31 :: v_dual_mul_f32 v101, v58, v25
	v_dual_mul_f32 v103, v68, v27 :: v_dual_mul_f32 v104, v71, v33
	v_fma_f32 v64, v66, v36, -v92
	s_delay_alu instid0(VALU_DEP_4)
	v_fma_f32 v63, v72, v34, -v106
	v_fmac_f32_e32 v99, v57, v30
	v_fma_f32 v57, v58, v24, -v100
	v_fma_f32 v58, v68, v26, -v102
	v_fmac_f32_e32 v105, v71, v32
	v_fmac_f32_e32 v107, v73, v34
	s_delay_alu instid0(VALU_DEP_4) | instskip(SKIP_1) | instid1(VALU_DEP_4)
	v_dual_add_f32 v65, v53, v78 :: v_dual_add_f32 v92, v60, v57
	v_fma_f32 v61, v62, v28, -v96
	v_sub_f32_e32 v72, v91, v105
	s_delay_alu instid0(VALU_DEP_4)
	v_dual_fmac_f32 v101, v59, v24 :: v_dual_sub_f32 v68, v78, v107
	v_dual_add_f32 v67, v78, v107 :: v_dual_sub_f32 v78, v64, v58
	v_fmac_f32_e32 v103, v69, v26
	v_fma_f32 v56, v56, v30, -v98
	v_fma_f32 v62, v70, v32, -v104
	v_dual_add_f32 v70, v91, v105 :: v_dual_add_f32 v59, v52, v54
	s_delay_alu instid0(VALU_DEP_4) | instskip(SKIP_1) | instid1(VALU_DEP_4)
	v_sub_f32_e32 v90, v93, v103
	v_add_f32_e32 v66, v54, v63
	v_dual_sub_f32 v54, v54, v63 :: v_dual_add_f32 v69, v55, v62
	v_dual_sub_f32 v96, v60, v57 :: v_dual_sub_f32 v71, v55, v62
	v_dual_add_f32 v100, v61, v56 :: v_dual_add_f32 v73, v64, v58
	v_dual_sub_f32 v98, v95, v101 :: v_dual_add_f32 v77, v93, v103
	v_mul_f32_e32 v108, 0xbf68dda4, v68
	v_add_f32_e32 v102, v97, v99
	v_dual_sub_f32 v104, v61, v56 :: v_dual_add_f32 v55, v59, v55
	v_sub_f32_e32 v106, v97, v99
	v_dual_add_f32 v59, v65, v91 :: v_dual_mul_f32 v110, 0xbf7d64f0, v68
	v_mul_f32_e32 v65, 0xbf0a6770, v68
	v_mul_f32_e32 v91, 0xbf0a6770, v54
	v_dual_mul_f32 v109, 0xbf68dda4, v54 :: v_dual_mul_f32 v114, 0xbf68dda4, v72
	v_mul_f32_e32 v111, 0xbf7d64f0, v54
	v_dual_mul_f32 v112, 0xbf4178ce, v68 :: v_dual_mul_f32 v113, 0xbf4178ce, v54
	v_dual_mul_f32 v68, 0xbe903f40, v68 :: v_dual_add_f32 v59, v59, v93
	v_dual_mul_f32 v116, 0xbf4178ce, v72 :: v_dual_mul_f32 v117, 0xbf4178ce, v71
	v_dual_mul_f32 v118, 0x3e903f40, v72 :: v_dual_mul_f32 v119, 0x3e903f40, v71
	v_dual_mul_f32 v120, 0x3f7d64f0, v72 :: v_dual_mul_f32 v121, 0x3f7d64f0, v71
	v_mul_f32_e32 v72, 0x3f0a6770, v72
	v_dual_mul_f32 v128, 0xbf0a6770, v90 :: v_dual_mul_f32 v135, 0xbf0a6770, v96
	v_add_f32_e32 v94, v95, v101
	v_dual_mul_f32 v54, 0xbe903f40, v54 :: v_dual_mul_f32 v137, 0xbe903f40, v96
	v_dual_mul_f32 v122, 0xbf7d64f0, v90 :: v_dual_add_f32 v55, v55, v64
	v_dual_mul_f32 v126, 0x3f68dda4, v90 :: v_dual_mul_f32 v145, 0x3f68dda4, v104
	v_mul_f32_e32 v127, 0x3f68dda4, v78
	v_dual_mul_f32 v130, 0xbf4178ce, v98 :: v_dual_mul_f32 v143, 0xbf4178ce, v104
	v_mul_f32_e32 v131, 0xbf4178ce, v96
	v_dual_mul_f32 v132, 0x3f7d64f0, v98 :: v_dual_mul_f32 v133, 0x3f7d64f0, v96
	v_dual_mul_f32 v136, 0xbe903f40, v98 :: v_dual_mul_f32 v139, 0xbe903f40, v104
	v_mul_f32_e32 v96, 0x3f68dda4, v96
	v_dual_mul_f32 v140, 0x3f0a6770, v106 :: v_dual_mul_f32 v141, 0x3f0a6770, v104
	v_mul_f32_e32 v104, 0xbf7d64f0, v104
	v_fma_f32 v64, 0x3f575c64, v66, -v65
	v_mul_f32_e32 v115, 0xbf68dda4, v71
	v_mul_f32_e32 v71, 0x3f0a6770, v71
	v_fmamk_f32 v93, v67, 0x3f575c64, v91
	v_fmac_f32_e32 v65, 0x3f575c64, v66
	v_fma_f32 v91, 0x3f575c64, v67, -v91
	v_mul_f32_e32 v134, 0xbf0a6770, v98
	v_fma_f32 v146, 0x3ed4b147, v66, -v108
	v_dual_fmamk_f32 v147, v67, 0x3ed4b147, v109 :: v_dual_fmac_f32 v108, 0x3ed4b147, v66
	v_mul_f32_e32 v123, 0xbf7d64f0, v78
	v_mul_f32_e32 v125, 0x3e903f40, v78
	v_fma_f32 v109, 0x3ed4b147, v67, -v109
	v_mul_f32_e32 v98, 0x3f68dda4, v98
	v_fma_f32 v148, 0xbe11bafb, v66, -v110
	v_mul_f32_e32 v138, 0xbe903f40, v106
	v_dual_fmamk_f32 v149, v67, 0xbe11bafb, v111 :: v_dual_fmac_f32 v110, 0xbe11bafb, v66
	v_mul_f32_e32 v129, 0xbf0a6770, v78
	v_fma_f32 v111, 0xbe11bafb, v67, -v111
	v_mul_f32_e32 v142, 0xbf4178ce, v106
	v_fmamk_f32 v151, v67, 0xbf27a4f4, v113
	v_fma_f32 v113, 0xbf27a4f4, v67, -v113
	v_mul_f32_e32 v144, 0x3f68dda4, v106
	v_fma_f32 v152, 0xbf75a155, v66, -v68
	v_mul_f32_e32 v106, 0xbf7d64f0, v106
	v_fma_f32 v160, 0x3f575c64, v69, -v72
	v_fmac_f32_e32 v72, 0x3f575c64, v69
	v_dual_mul_f32 v124, 0x3e903f40, v90 :: v_dual_add_f32 v93, v53, v93
	v_mul_f32_e32 v90, 0xbf4178ce, v90
	v_fma_f32 v166, 0x3f575c64, v73, -v128
	v_fmac_f32_e32 v128, 0x3f575c64, v73
	v_dual_mul_f32 v78, 0xbf4178ce, v78 :: v_dual_add_f32 v65, v52, v65
	v_fma_f32 v150, 0xbf27a4f4, v66, -v112
	v_fmac_f32_e32 v112, 0xbf27a4f4, v66
	v_fmamk_f32 v153, v67, 0xbf75a155, v54
	v_dual_fmac_f32 v68, 0xbf75a155, v66 :: v_dual_fmamk_f32 v157, v70, 0xbf75a155, v119
	v_fma_f32 v54, 0xbf75a155, v67, -v54
	v_fma_f32 v66, 0x3ed4b147, v69, -v114
	v_fmac_f32_e32 v114, 0x3ed4b147, v69
	v_fma_f32 v154, 0xbf27a4f4, v69, -v116
	v_dual_fmamk_f32 v155, v70, 0xbf27a4f4, v117 :: v_dual_fmac_f32 v116, 0xbf27a4f4, v69
	v_fma_f32 v117, 0xbf27a4f4, v70, -v117
	v_fma_f32 v156, 0xbf75a155, v69, -v118
	;; [unrolled: 1-line block ×4, first 2 shown]
	v_dual_fmamk_f32 v159, v70, 0xbe11bafb, v121 :: v_dual_fmac_f32 v120, 0xbe11bafb, v69
	v_fma_f32 v121, 0xbe11bafb, v70, -v121
	v_fma_f32 v162, 0xbf75a155, v73, -v124
	v_dual_fmac_f32 v124, 0xbf75a155, v73 :: v_dual_fmamk_f32 v175, v94, 0xbf75a155, v137
	v_fma_f32 v164, 0x3ed4b147, v73, -v126
	v_dual_fmamk_f32 v165, v77, 0x3ed4b147, v127 :: v_dual_fmac_f32 v126, 0x3ed4b147, v73
	v_fma_f32 v127, 0x3ed4b147, v77, -v127
	v_fmamk_f32 v167, v77, 0x3f575c64, v129
	v_fma_f32 v129, 0x3f575c64, v77, -v129
	v_fma_f32 v168, 0xbf27a4f4, v73, -v90
	v_fmamk_f32 v169, v77, 0xbf27a4f4, v78
	v_fmac_f32_e32 v90, 0xbf27a4f4, v73
	v_fma_f32 v170, 0xbe11bafb, v92, -v132
	v_dual_fmamk_f32 v171, v94, 0xbe11bafb, v133 :: v_dual_fmac_f32 v132, 0xbe11bafb, v92
	v_fma_f32 v133, 0xbe11bafb, v94, -v133
	v_fmamk_f32 v173, v94, 0x3f575c64, v135
	v_fma_f32 v135, 0x3f575c64, v94, -v135
	v_fma_f32 v174, 0xbf75a155, v92, -v136
	v_fmac_f32_e32 v136, 0xbf75a155, v92
	v_fma_f32 v137, 0xbf75a155, v94, -v137
	v_dual_fmamk_f32 v177, v94, 0x3ed4b147, v96 :: v_dual_add_f32 v110, v52, v110
	v_fma_f32 v178, 0x3f575c64, v100, -v140
	v_fmac_f32_e32 v140, 0x3f575c64, v100
	v_fma_f32 v182, 0xbe11bafb, v100, -v106
	v_fmac_f32_e32 v106, 0xbe11bafb, v100
	v_dual_add_f32 v64, v52, v64 :: v_dual_fmamk_f32 v67, v70, 0x3ed4b147, v115
	v_fma_f32 v115, 0x3ed4b147, v70, -v115
	v_add_f32_e32 v91, v53, v91
	v_fmamk_f32 v161, v70, 0x3f575c64, v71
	v_fma_f32 v172, 0x3f575c64, v92, -v134
	v_fmac_f32_e32 v134, 0x3f575c64, v92
	v_add_f32_e32 v108, v52, v108
	v_dual_fmac_f32 v118, 0xbf75a155, v69 :: v_dual_fmamk_f32 v163, v77, 0xbf75a155, v125
	v_fma_f32 v69, 0x3f575c64, v70, -v71
	v_fma_f32 v70, 0xbe11bafb, v73, -v122
	v_dual_fmamk_f32 v71, v77, 0xbe11bafb, v123 :: v_dual_fmac_f32 v122, 0xbe11bafb, v73
	v_fma_f32 v123, 0xbe11bafb, v77, -v123
	v_fma_f32 v125, 0xbf75a155, v77, -v125
	;; [unrolled: 1-line block ×4, first 2 shown]
	v_fmamk_f32 v78, v94, 0xbf27a4f4, v131
	v_dual_fmac_f32 v130, 0xbf27a4f4, v92 :: v_dual_add_f32 v59, v59, v95
	v_fma_f32 v131, 0xbf27a4f4, v94, -v131
	v_add_f32_e32 v109, v53, v109
	v_fma_f32 v176, 0x3ed4b147, v92, -v98
	v_dual_fmac_f32 v98, 0x3ed4b147, v92 :: v_dual_fmamk_f32 v183, v102, 0x3ed4b147, v145
	v_fma_f32 v92, 0x3ed4b147, v94, -v96
	v_fma_f32 v94, 0xbf75a155, v100, -v138
	v_dual_fmac_f32 v138, 0xbf75a155, v100 :: v_dual_add_f32 v111, v53, v111
	v_fma_f32 v180, 0xbf27a4f4, v100, -v142
	v_dual_fmac_f32 v142, 0xbf27a4f4, v100 :: v_dual_add_f32 v113, v53, v113
	v_fma_f32 v181, 0x3ed4b147, v100, -v144
	v_fmac_f32_e32 v144, 0x3ed4b147, v100
	v_dual_fmamk_f32 v100, v102, 0xbf27a4f4, v143 :: v_dual_add_f32 v55, v55, v60
	v_fmamk_f32 v96, v102, 0xbf75a155, v139
	v_fma_f32 v139, 0xbf75a155, v102, -v139
	v_fmamk_f32 v179, v102, 0x3f575c64, v141
	v_fma_f32 v141, 0x3f575c64, v102, -v141
	v_fma_f32 v143, 0xbf27a4f4, v102, -v143
	;; [unrolled: 1-line block ×3, first 2 shown]
	v_fmamk_f32 v184, v102, 0xbe11bafb, v104
	v_fma_f32 v102, 0xbe11bafb, v102, -v104
	v_add_f32_e32 v104, v52, v146
	v_dual_add_f32 v146, v53, v147 :: v_dual_add_f32 v147, v52, v148
	v_dual_add_f32 v148, v53, v149 :: v_dual_add_f32 v149, v52, v150
	v_add_f32_e32 v150, v53, v151
	v_add_f32_e32 v112, v52, v112
	v_dual_add_f32 v151, v52, v152 :: v_dual_add_f32 v60, v53, v153
	v_dual_add_f32 v52, v52, v68 :: v_dual_add_f32 v53, v53, v54
	v_add_f32_e32 v54, v55, v61
	v_add_f32_e32 v55, v59, v97
	;; [unrolled: 1-line block ×4, first 2 shown]
	v_dual_add_f32 v93, v156, v147 :: v_dual_add_f32 v64, v114, v65
	v_add_f32_e32 v95, v157, v148
	v_dual_add_f32 v65, v115, v91 :: v_dual_add_f32 v66, v154, v104
	v_dual_add_f32 v67, v155, v146 :: v_dual_add_f32 v68, v116, v108
	v_add_f32_e32 v53, v69, v53
	v_add_f32_e32 v91, v117, v109
	v_dual_add_f32 v97, v118, v110 :: v_dual_add_f32 v104, v119, v111
	v_dual_add_f32 v108, v158, v149 :: v_dual_add_f32 v55, v55, v99
	;; [unrolled: 1-line block ×3, first 2 shown]
	v_add_f32_e32 v111, v121, v113
	v_dual_add_f32 v60, v161, v60 :: v_dual_add_f32 v69, v164, v93
	v_add_f32_e32 v52, v72, v52
	s_delay_alu instid0(VALU_DEP_4)
	v_dual_add_f32 v54, v54, v56 :: v_dual_add_f32 v93, v167, v109
	v_add_f32_e32 v112, v160, v151
	v_dual_add_f32 v56, v70, v59 :: v_dual_add_f32 v59, v71, v61
	v_dual_add_f32 v61, v122, v64 :: v_dual_add_f32 v64, v123, v65
	;; [unrolled: 1-line block ×5, first 2 shown]
	v_add_f32_e32 v55, v55, v101
	v_dual_add_f32 v71, v126, v97 :: v_dual_add_f32 v72, v127, v104
	v_add_f32_e32 v97, v129, v111
	v_add_f32_e32 v91, v166, v108
	v_dual_add_f32 v95, v128, v110 :: v_dual_add_f32 v60, v169, v60
	v_dual_add_f32 v52, v90, v52 :: v_dual_add_f32 v53, v73, v53
	;; [unrolled: 1-line block ×9, first 2 shown]
	v_add_f32_e32 v91, v176, v99
	v_dual_add_f32 v77, v175, v93 :: v_dual_add_f32 v78, v136, v95
	v_dual_add_f32 v90, v137, v97 :: v_dual_add_f32 v95, v55, v103
	v_add_f32_e32 v93, v177, v60
	v_dual_add_f32 v52, v98, v52 :: v_dual_add_f32 v53, v92, v53
	v_add_f32_e32 v92, v54, v58
	v_dual_add_f32 v58, v94, v56 :: v_dual_add_f32 v59, v96, v57
	v_dual_add_f32 v56, v138, v61 :: v_dual_add_f32 v57, v139, v64
	;; [unrolled: 1-line block ×7, first 2 shown]
	v_add_f32_e32 v72, v95, v105
	v_dual_add_f32 v69, v183, v77 :: v_dual_add_f32 v62, v144, v78
	v_add_f32_e32 v70, v182, v91
	s_delay_alu instid0(VALU_DEP_4)
	v_add_f32_e32 v77, v71, v63
	v_add_f32_e32 v71, v184, v93
	;; [unrolled: 1-line block ×3, first 2 shown]
	v_dual_add_f32 v63, v145, v90 :: v_dual_add_f32 v78, v72, v107
	v_add_f32_e32 v72, v106, v52
	ds_store_b64 v86, v[77:78]
	ds_store_2addr_b64 v86, v[58:59], v[60:61] offset0:65 offset1:130
	ds_store_2addr_b64 v75, v[66:67], v[68:69] offset0:67 offset1:132
	;; [unrolled: 1-line block ×5, first 2 shown]
	global_wb scope:SCOPE_SE
	s_wait_dscnt 0x0
	s_barrier_signal -1
	s_barrier_wait -1
	global_inv scope:SCOPE_SE
	s_and_saveexec_b32 s1, vcc_lo
	s_cbranch_execz .LBB0_13
; %bb.12:
	global_load_b64 v[52:53], v81, s[8:9] offset:5720
	s_add_nc_u64 s[2:3], s[8:9], 0x1658
	s_clause 0xb
	global_load_b64 v[114:115], v81, s[2:3] offset:440
	global_load_b64 v[116:117], v81, s[2:3] offset:880
	;; [unrolled: 1-line block ×12, first 2 shown]
	ds_load_b64 v[90:91], v86
	s_wait_loadcnt_dscnt 0xc00
	v_mul_f32_e32 v75, v91, v53
	v_mul_f32_e32 v93, v90, v53
	s_delay_alu instid0(VALU_DEP_2) | instskip(NEXT) | instid1(VALU_DEP_2)
	v_fma_f32 v92, v90, v52, -v75
	v_fmac_f32_e32 v93, v91, v52
	ds_store_b64 v86, v[92:93]
	ds_load_2addr_b64 v[90:93], v86 offset0:55 offset1:110
	ds_load_2addr_b64 v[94:97], v86 offset0:165 offset1:220
	;; [unrolled: 1-line block ×6, first 2 shown]
	s_wait_loadcnt_dscnt 0xb05
	v_mul_f32_e32 v52, v91, v115
	v_mul_f32_e32 v53, v90, v115
	s_wait_loadcnt_dscnt 0x904
	v_dual_mul_f32 v75, v93, v117 :: v_dual_mul_f32 v138, v95, v119
	s_wait_loadcnt_dscnt 0x703
	v_dual_mul_f32 v115, v92, v117 :: v_dual_mul_f32 v140, v99, v123
	v_mul_f32_e32 v117, v94, v119
	s_wait_loadcnt_dscnt 0x502
	v_dual_mul_f32 v139, v97, v121 :: v_dual_mul_f32 v142, v103, v127
	s_wait_loadcnt_dscnt 0x301
	v_dual_mul_f32 v119, v96, v121 :: v_dual_mul_f32 v144, v107, v131
	v_mul_f32_e32 v121, v98, v123
	s_wait_loadcnt_dscnt 0x100
	v_dual_mul_f32 v141, v101, v125 :: v_dual_mul_f32 v146, v111, v135
	v_mul_f32_e32 v123, v100, v125
	v_mul_f32_e32 v125, v102, v127
	;; [unrolled: 1-line block ×8, first 2 shown]
	s_wait_loadcnt 0x0
	v_mul_f32_e32 v147, v113, v137
	v_mul_f32_e32 v135, v112, v137
	v_fma_f32 v52, v90, v114, -v52
	v_fmac_f32_e32 v53, v91, v114
	v_fma_f32 v114, v92, v116, -v75
	v_fmac_f32_e32 v115, v93, v116
	;; [unrolled: 2-line block ×12, first 2 shown]
	ds_store_2addr_b64 v86, v[52:53], v[114:115] offset0:55 offset1:110
	ds_store_2addr_b64 v86, v[116:117], v[118:119] offset0:165 offset1:220
	ds_store_2addr_b64 v76, v[120:121], v[122:123] offset0:19 offset1:74
	ds_store_2addr_b64 v76, v[124:125], v[126:127] offset0:129 offset1:184
	ds_store_2addr_b64 v79, v[128:129], v[130:131] offset0:111 offset1:166
	ds_store_2addr_b64 v80, v[132:133], v[134:135] offset0:93 offset1:148
.LBB0_13:
	s_wait_alu 0xfffe
	s_or_b32 exec_lo, exec_lo, s1
	global_wb scope:SCOPE_SE
	s_wait_dscnt 0x0
	s_barrier_signal -1
	s_barrier_wait -1
	global_inv scope:SCOPE_SE
	s_and_saveexec_b32 s1, vcc_lo
	s_cbranch_execz .LBB0_15
; %bb.14:
	v_add_nc_u32_e32 v48, 0x800, v86
	v_add_nc_u32_e32 v49, 0xc00, v86
	v_add_nc_u32_e32 v50, 0x1000, v86
	ds_load_b64 v[77:78], v86
	ds_load_2addr_b64 v[58:61], v86 offset0:55 offset1:110
	ds_load_2addr_b64 v[66:69], v86 offset0:165 offset1:220
	;; [unrolled: 1-line block ×6, first 2 shown]
.LBB0_15:
	s_wait_alu 0xfffe
	s_or_b32 exec_lo, exec_lo, s1
	s_wait_dscnt 0x0
	v_add_f32_e32 v130, v51, v59
	v_dual_sub_f32 v122, v59, v51 :: v_dual_sub_f32 v91, v58, v50
	v_add_f32_e32 v134, v49, v61
	v_sub_f32_e32 v128, v61, v49
	s_delay_alu instid0(VALU_DEP_4) | instskip(SKIP_3) | instid1(VALU_DEP_4)
	v_mul_f32_e32 v102, 0x3f62ad3f, v130
	v_add_f32_e32 v90, v50, v58
	v_dual_mul_f32 v108, 0xbf52af12, v122 :: v_dual_sub_f32 v93, v60, v48
	v_mul_f32_e32 v105, 0x3f116cb1, v134
	v_dual_fmamk_f32 v53, v91, 0xbeedf032, v102 :: v_dual_add_f32 v92, v48, v60
	s_delay_alu instid0(VALU_DEP_3) | instskip(SKIP_1) | instid1(VALU_DEP_4)
	v_fma_f32 v75, 0x3f116cb1, v90, -v108
	v_mul_f32_e32 v100, 0xbeedf032, v122
	v_fmamk_f32 v95, v93, 0xbf52af12, v105
	s_delay_alu instid0(VALU_DEP_4) | instskip(NEXT) | instid1(VALU_DEP_4)
	v_dual_add_f32 v53, v78, v53 :: v_dual_mul_f32 v114, 0xbf7e222b, v122
	v_add_f32_e32 v75, v77, v75
	v_dual_mul_f32 v119, 0xbe750f2a, v128 :: v_dual_add_f32 v140, v57, v67
	s_delay_alu instid0(VALU_DEP_3) | instskip(NEXT) | instid1(VALU_DEP_4)
	v_dual_add_f32 v53, v95, v53 :: v_dual_mul_f32 v112, 0xbf6f5d39, v128
	v_fma_f32 v79, 0x3df6dbef, v90, -v114
	v_fma_f32 v52, 0x3f62ad3f, v90, -v100
	v_mul_f32_e32 v111, 0x3f116cb1, v130
	v_dual_mul_f32 v104, 0xbf52af12, v128 :: v_dual_sub_f32 v133, v67, v57
	v_fma_f32 v96, 0xbeb58ec6, v92, -v112
	v_dual_mul_f32 v120, 0x3df6dbef, v130 :: v_dual_add_f32 v79, v77, v79
	v_fma_f32 v97, 0xbf788fa5, v92, -v119
	v_sub_f32_e32 v95, v66, v56
	s_delay_alu instid0(VALU_DEP_3) | instskip(SKIP_3) | instid1(VALU_DEP_3)
	v_dual_add_f32 v75, v96, v75 :: v_dual_fmamk_f32 v80, v91, 0xbf7e222b, v120
	v_dual_mul_f32 v107, 0x3df6dbef, v140 :: v_dual_add_f32 v144, v55, v69
	v_add_f32_e32 v52, v77, v52
	v_dual_fmamk_f32 v76, v91, 0xbf52af12, v111 :: v_dual_add_f32 v79, v97, v79
	v_dual_add_f32 v80, v78, v80 :: v_dual_fmamk_f32 v97, v95, 0xbf7e222b, v107
	v_fma_f32 v94, 0x3f116cb1, v92, -v104
	v_mul_f32_e32 v116, 0xbeb58ec6, v134
	s_delay_alu instid0(VALU_DEP_4) | instskip(NEXT) | instid1(VALU_DEP_4)
	v_dual_add_f32 v76, v78, v76 :: v_dual_mul_f32 v129, 0xbf788fa5, v134
	v_add_f32_e32 v53, v97, v53
	v_sub_f32_e32 v97, v68, v54
	v_mul_f32_e32 v121, 0xbf788fa5, v140
	v_add_f32_e32 v52, v94, v52
	v_fmamk_f32 v94, v93, 0xbf6f5d39, v116
	v_dual_mul_f32 v118, 0xbe750f2a, v133 :: v_dual_sub_f32 v137, v69, v55
	v_dual_mul_f32 v106, 0xbf7e222b, v133 :: v_dual_add_f32 v147, v65, v71
	s_delay_alu instid0(VALU_DEP_3) | instskip(NEXT) | instid1(VALU_DEP_3)
	v_add_f32_e32 v76, v94, v76
	v_dual_add_f32 v94, v56, v66 :: v_dual_mul_f32 v109, 0xbf6f5d39, v137
	v_mul_f32_e32 v136, 0xbeb58ec6, v140
	v_mul_f32_e32 v126, 0x3f6f5d39, v133
	;; [unrolled: 1-line block ×3, first 2 shown]
	s_delay_alu instid0(VALU_DEP_4) | instskip(SKIP_3) | instid1(VALU_DEP_4)
	v_fma_f32 v98, 0xbf788fa5, v94, -v118
	v_mul_f32_e32 v125, 0x3f29c268, v137
	v_dual_mul_f32 v127, 0xbf3f9e67, v144 :: v_dual_sub_f32 v148, v73, v63
	v_dual_mul_f32 v142, 0x3f62ad3f, v144 :: v_dual_add_f32 v149, v63, v73
	v_dual_add_f32 v75, v98, v75 :: v_dual_fmamk_f32 v96, v93, 0xbe750f2a, v129
	v_fmamk_f32 v98, v95, 0x3f6f5d39, v136
	v_fmamk_f32 v101, v97, 0xbf6f5d39, v110
	v_sub_f32_e32 v143, v71, v65
	s_delay_alu instid0(VALU_DEP_4) | instskip(SKIP_2) | instid1(VALU_DEP_4)
	v_dual_fmamk_f32 v113, v97, 0x3f29c268, v127 :: v_dual_add_f32 v80, v96, v80
	v_fma_f32 v96, 0x3df6dbef, v94, -v106
	v_mul_f32_e32 v132, 0x3eedf032, v137
	v_dual_add_f32 v53, v101, v53 :: v_dual_mul_f32 v138, 0xbf52af12, v143
	s_delay_alu instid0(VALU_DEP_4)
	v_add_f32_e32 v80, v98, v80
	v_dual_add_f32 v98, v64, v70 :: v_dual_fmamk_f32 v99, v95, 0xbe750f2a, v121
	v_add_f32_e32 v52, v96, v52
	v_fma_f32 v96, 0xbeb58ec6, v94, -v126
	v_mul_f32_e32 v115, 0xbf3f9e67, v147
	global_wb scope:SCOPE_SE
	v_dual_add_f32 v76, v99, v76 :: v_dual_mul_f32 v135, 0x3df6dbef, v147
	v_dual_add_f32 v79, v96, v79 :: v_dual_add_f32 v96, v54, v68
	s_barrier_signal -1
	s_barrier_wait -1
	v_mul_f32_e32 v145, 0x3f116cb1, v147
	global_inv scope:SCOPE_SE
	v_fma_f32 v103, 0xbf3f9e67, v96, -v125
	v_fma_f32 v99, 0xbeb58ec6, v96, -v109
	s_delay_alu instid0(VALU_DEP_2) | instskip(NEXT) | instid1(VALU_DEP_2)
	v_dual_mul_f32 v146, 0xbf3f9e67, v149 :: v_dual_add_f32 v75, v103, v75
	v_dual_fmamk_f32 v103, v97, 0x3eedf032, v142 :: v_dual_add_f32 v52, v99, v52
	v_sub_f32_e32 v99, v70, v64
	v_dual_add_f32 v76, v113, v76 :: v_dual_mul_f32 v113, 0xbf29c268, v143
	v_fma_f32 v101, 0x3f62ad3f, v96, -v132
	v_mul_f32_e32 v124, 0x3f7e222b, v143
	v_add_f32_e32 v80, v103, v80
	v_fmamk_f32 v123, v99, 0xbf29c268, v115
	v_fma_f32 v117, 0xbf3f9e67, v98, -v113
	v_add_f32_e32 v79, v101, v79
	v_fmamk_f32 v103, v99, 0x3f7e222b, v135
	v_fma_f32 v101, 0x3df6dbef, v98, -v124
	s_delay_alu instid0(VALU_DEP_4) | instskip(NEXT) | instid1(VALU_DEP_3)
	v_dual_add_f32 v53, v123, v53 :: v_dual_add_f32 v52, v117, v52
	v_dual_add_f32 v76, v103, v76 :: v_dual_sub_f32 v103, v72, v62
	s_delay_alu instid0(VALU_DEP_3) | instskip(SKIP_4) | instid1(VALU_DEP_3)
	v_add_f32_e32 v75, v101, v75
	v_add_f32_e32 v101, v62, v72
	v_fma_f32 v123, 0x3f116cb1, v98, -v138
	v_mul_f32_e32 v117, 0xbe750f2a, v148
	v_dual_mul_f32 v141, 0xbf29c268, v148 :: v_dual_fmamk_f32 v154, v103, 0xbf29c268, v146
	v_add_f32_e32 v150, v123, v79
	s_delay_alu instid0(VALU_DEP_3) | instskip(SKIP_1) | instid1(VALU_DEP_4)
	v_fma_f32 v139, 0xbf788fa5, v101, -v117
	v_mul_f32_e32 v123, 0xbf788fa5, v149
	v_fma_f32 v153, 0xbf3f9e67, v101, -v141
	s_delay_alu instid0(VALU_DEP_3) | instskip(NEXT) | instid1(VALU_DEP_3)
	v_dual_add_f32 v52, v139, v52 :: v_dual_mul_f32 v139, 0x3f62ad3f, v149
	v_fmamk_f32 v79, v103, 0xbe750f2a, v123
	s_delay_alu instid0(VALU_DEP_2) | instskip(SKIP_1) | instid1(VALU_DEP_3)
	v_fmamk_f32 v152, v103, 0x3eedf032, v139
	v_fmamk_f32 v131, v99, 0xbf52af12, v145
	v_add_f32_e32 v53, v79, v53
	s_delay_alu instid0(VALU_DEP_2) | instskip(SKIP_1) | instid1(VALU_DEP_1)
	v_add_f32_e32 v151, v131, v80
	v_mul_f32_e32 v131, 0x3eedf032, v148
	v_fma_f32 v80, 0x3f62ad3f, v101, -v131
	s_delay_alu instid0(VALU_DEP_1)
	v_add_f32_e32 v79, v80, v75
	v_add_f32_e32 v80, v152, v76
	v_dual_add_f32 v76, v154, v151 :: v_dual_add_f32 v75, v153, v150
	s_and_saveexec_b32 s1, vcc_lo
	s_cbranch_execz .LBB0_17
; %bb.16:
	v_dual_mul_f32 v165, 0xbe750f2a, v93 :: v_dual_mul_f32 v192, 0xbe750f2a, v122
	v_dual_mul_f32 v195, 0x3eedf032, v128 :: v_dual_mul_f32 v214, 0x3eedf032, v143
	v_mul_f32_e32 v154, 0x3f62ad3f, v90
	v_dual_mul_f32 v194, 0xbf29c268, v103 :: v_dual_mul_f32 v197, 0xbf29c268, v133
	s_delay_alu instid0(VALU_DEP_4) | instskip(SKIP_3) | instid1(VALU_DEP_4)
	v_dual_fmamk_f32 v152, v90, 0xbf788fa5, v192 :: v_dual_sub_f32 v129, v129, v165
	v_mul_f32_e32 v163, 0xbf6f5d39, v93
	v_fmamk_f32 v153, v92, 0x3f62ad3f, v195
	v_mul_f32_e32 v180, 0xbf788fa5, v130
	v_dual_add_f32 v152, v77, v152 :: v_dual_mul_f32 v169, 0xbe750f2a, v95
	v_mul_f32_e32 v199, 0x3f52af12, v137
	v_dual_mul_f32 v176, 0x3f62ad3f, v96 :: v_dual_mul_f32 v185, 0x3f62ad3f, v134
	s_delay_alu instid0(VALU_DEP_3) | instskip(SKIP_3) | instid1(VALU_DEP_4)
	v_dual_add_f32 v152, v153, v152 :: v_dual_fmamk_f32 v153, v94, 0xbf3f9e67, v197
	v_mul_f32_e32 v200, 0xbf3f9e67, v130
	v_mul_f32_e32 v173, 0xbf6f5d39, v97
	v_dual_fmamk_f32 v150, v91, 0x3e750f2a, v180 :: v_dual_mul_f32 v213, 0x3e750f2a, v137
	v_dual_add_f32 v152, v153, v152 :: v_dual_fmamk_f32 v153, v96, 0x3f116cb1, v199
	v_mul_f32_e32 v201, 0xbf6f5d39, v143
	v_mul_f32_e32 v202, 0x3df6dbef, v134
	s_delay_alu instid0(VALU_DEP_4)
	v_dual_mul_f32 v155, 0xbeedf032, v91 :: v_dual_add_f32 v150, v78, v150
	v_mul_f32_e32 v170, 0xbeb58ec6, v94
	v_dual_mul_f32 v178, 0xbf3f9e67, v98 :: v_dual_mul_f32 v189, 0xbf3f9e67, v140
	v_dual_mul_f32 v179, 0xbf29c268, v99 :: v_dual_add_f32 v152, v153, v152
	v_fmamk_f32 v153, v98, 0xbeb58ec6, v201
	v_dual_fmamk_f32 v204, v93, 0xbf7e222b, v202 :: v_dual_mul_f32 v137, 0xbf7e222b, v137
	v_fmamk_f32 v151, v93, 0xbeedf032, v185
	s_delay_alu instid0(VALU_DEP_3) | instskip(SKIP_1) | instid1(VALU_DEP_3)
	v_dual_mul_f32 v157, 0xbf52af12, v91 :: v_dual_add_f32 v152, v153, v152
	v_dual_mul_f32 v182, 0x3f7e222b, v99 :: v_dual_mul_f32 v203, 0x3f7e222b, v148
	v_add_f32_e32 v150, v151, v150
	v_fmamk_f32 v151, v95, 0x3f29c268, v189
	v_mul_f32_e32 v159, 0xbf7e222b, v91
	v_mul_f32_e32 v215, 0xbf6f5d39, v148
	;; [unrolled: 1-line block ×3, first 2 shown]
	v_dual_mul_f32 v156, 0x3f116cb1, v90 :: v_dual_mul_f32 v193, 0x3f116cb1, v144
	v_add_f32_e32 v150, v151, v150
	v_sub_f32_e32 v120, v120, v159
	v_fmamk_f32 v165, v96, 0x3df6dbef, v137
	v_mul_f32_e32 v143, 0x3e750f2a, v143
	v_mul_f32_e32 v208, 0xbf788fa5, v144
	;; [unrolled: 1-line block ×4, first 2 shown]
	v_add_f32_e32 v120, v78, v120
	v_mul_f32_e32 v196, 0xbeb58ec6, v147
	v_dual_mul_f32 v158, 0x3df6dbef, v90 :: v_dual_fmamk_f32 v153, v101, 0x3df6dbef, v203
	s_delay_alu instid0(VALU_DEP_4) | instskip(SKIP_3) | instid1(VALU_DEP_3)
	v_fmamk_f32 v210, v92, 0x3df6dbef, v209
	v_fmamk_f32 v151, v97, 0xbf52af12, v193
	v_mul_f32_e32 v167, 0xbf7e222b, v95
	v_dual_mul_f32 v181, 0x3df6dbef, v98 :: v_dual_mul_f32 v198, 0x3df6dbef, v149
	v_dual_mul_f32 v175, 0x3f29c268, v97 :: v_dual_add_f32 v150, v151, v150
	v_fmamk_f32 v151, v99, 0x3f6f5d39, v196
	v_mul_f32_e32 v171, 0x3f6f5d39, v95
	v_mul_f32_e32 v134, 0xbf3f9e67, v134
	v_dual_add_f32 v120, v129, v120 :: v_dual_sub_f32 v111, v111, v157
	s_delay_alu instid0(VALU_DEP_4) | instskip(SKIP_3) | instid1(VALU_DEP_3)
	v_add_f32_e32 v150, v151, v150
	v_fmamk_f32 v151, v103, 0xbf7e222b, v198
	v_mul_f32_e32 v162, 0xbeb58ec6, v92
	v_dual_mul_f32 v206, 0xbf29c268, v122 :: v_dual_sub_f32 v129, v136, v171
	v_dual_fmamk_f32 v216, v93, 0xbf29c268, v134 :: v_dual_add_f32 v151, v151, v150
	v_fmamk_f32 v150, v91, 0x3f29c268, v200
	v_mul_f32_e32 v187, 0xbe750f2a, v103
	v_mul_f32_e32 v211, 0xbf52af12, v133
	v_mul_f32_e32 v205, 0x3f116cb1, v140
	v_add_f32_e32 v111, v78, v111
	v_dual_add_f32 v150, v78, v150 :: v_dual_mul_f32 v177, 0x3eedf032, v97
	v_mul_f32_e32 v190, 0x3eedf032, v103
	v_dual_mul_f32 v161, 0xbf52af12, v93 :: v_dual_mul_f32 v184, 0xbf52af12, v99
	s_delay_alu instid0(VALU_DEP_3)
	v_add_f32_e32 v204, v204, v150
	v_add_f32_e32 v150, v153, v152
	v_fmamk_f32 v152, v90, 0xbf3f9e67, v206
	v_mul_f32_e32 v188, 0x3f62ad3f, v101
	v_add_f32_e32 v120, v129, v120
	v_sub_f32_e32 v142, v142, v177
	v_sub_f32_e32 v116, v116, v163
	v_add_f32_e32 v152, v77, v152
	v_mul_f32_e32 v212, 0xbeb58ec6, v149
	v_fmac_f32_e32 v200, 0xbf29c268, v91
	v_add_f32_e32 v120, v142, v120
	v_sub_f32_e32 v142, v145, v184
	v_add_f32_e32 v152, v210, v152
	v_dual_fmamk_f32 v210, v94, 0x3f116cb1, v211 :: v_dual_add_f32 v111, v116, v111
	v_sub_f32_e32 v116, v121, v169
	s_delay_alu instid0(VALU_DEP_4) | instskip(SKIP_1) | instid1(VALU_DEP_4)
	v_add_f32_e32 v120, v142, v120
	v_add_f32_e32 v112, v162, v112
	;; [unrolled: 1-line block ×3, first 2 shown]
	v_fmamk_f32 v210, v96, 0xbf788fa5, v213
	v_dual_add_f32 v111, v116, v111 :: v_dual_mul_f32 v122, 0xbf6f5d39, v122
	v_sub_f32_e32 v102, v102, v155
	v_mul_f32_e32 v140, 0x3f62ad3f, v140
	s_delay_alu instid0(VALU_DEP_4)
	v_add_f32_e32 v152, v210, v152
	v_fmamk_f32 v210, v98, 0x3f62ad3f, v214
	v_fmamk_f32 v207, v95, 0x3f52af12, v205
	v_fmac_f32_e32 v205, 0xbf52af12, v95
	v_sub_f32_e32 v116, v127, v175
	v_mul_f32_e32 v130, 0xbeb58ec6, v130
	v_add_f32_e32 v152, v210, v152
	v_dual_mul_f32 v166, 0x3df6dbef, v94 :: v_dual_add_f32 v153, v207, v204
	v_fmamk_f32 v204, v97, 0xbe750f2a, v208
	v_mul_f32_e32 v207, 0x3f62ad3f, v147
	v_dual_mul_f32 v164, 0xbf788fa5, v92 :: v_dual_mul_f32 v147, 0xbf788fa5, v147
	v_add_f32_e32 v111, v116, v111
	s_delay_alu instid0(VALU_DEP_3)
	v_dual_add_f32 v153, v204, v153 :: v_dual_fmamk_f32 v204, v99, 0xbeedf032, v207
	v_mul_f32_e32 v168, 0xbf788fa5, v94
	v_sub_f32_e32 v116, v135, v182
	v_fmamk_f32 v210, v101, 0xbeb58ec6, v215
	v_mul_f32_e32 v133, 0x3eedf032, v133
	v_dual_add_f32 v153, v204, v153 :: v_dual_fmamk_f32 v204, v103, 0x3f6f5d39, v212
	s_delay_alu instid0(VALU_DEP_4) | instskip(NEXT) | instid1(VALU_DEP_4)
	v_dual_mul_f32 v172, 0xbeb58ec6, v96 :: v_dual_add_f32 v111, v116, v111
	v_add_f32_e32 v152, v210, v152
	s_delay_alu instid0(VALU_DEP_3) | instskip(SKIP_2) | instid1(VALU_DEP_3)
	v_dual_fmamk_f32 v210, v90, 0xbeb58ec6, v122 :: v_dual_add_f32 v153, v204, v153
	v_fmamk_f32 v204, v91, 0x3f6f5d39, v130
	v_mul_f32_e32 v217, 0x3f29c268, v128
	v_dual_mul_f32 v149, 0x3f116cb1, v149 :: v_dual_add_f32 v210, v77, v210
	v_add_f32_e32 v114, v158, v114
	s_delay_alu instid0(VALU_DEP_4) | instskip(SKIP_2) | instid1(VALU_DEP_3)
	v_dual_add_f32 v204, v78, v204 :: v_dual_add_f32 v119, v164, v119
	v_fmac_f32_e32 v180, 0xbe750f2a, v91
	v_dual_add_f32 v126, v170, v126 :: v_dual_fmac_f32 v189, 0xbf29c268, v95
	v_add_f32_e32 v204, v216, v204
	v_fmamk_f32 v216, v95, 0xbeedf032, v140
	v_dual_add_f32 v114, v77, v114 :: v_dual_fmac_f32 v185, 0x3eedf032, v93
	v_dual_mul_f32 v160, 0x3f116cb1, v92 :: v_dual_mul_f32 v183, 0x3f116cb1, v98
	s_delay_alu instid0(VALU_DEP_3) | instskip(SKIP_4) | instid1(VALU_DEP_4)
	v_add_f32_e32 v128, v216, v204
	v_fmamk_f32 v216, v92, 0xbf3f9e67, v217
	v_mul_f32_e32 v186, 0xbf788fa5, v101
	v_fmamk_f32 v204, v97, 0x3f7e222b, v144
	v_dual_add_f32 v114, v119, v114 :: v_dual_fmac_f32 v207, 0x3eedf032, v99
	v_dual_add_f32 v159, v216, v210 :: v_dual_fmamk_f32 v210, v94, 0x3f62ad3f, v133
	s_delay_alu instid0(VALU_DEP_3) | instskip(SKIP_1) | instid1(VALU_DEP_4)
	v_add_f32_e32 v128, v204, v128
	v_fmamk_f32 v204, v99, 0xbe750f2a, v147
	v_add_f32_e32 v114, v126, v114
	v_add_f32_e32 v58, v58, v77
	v_dual_add_f32 v159, v210, v159 :: v_dual_fmac_f32 v202, 0x3f7e222b, v93
	v_dual_add_f32 v108, v156, v108 :: v_dual_fmac_f32 v193, 0x3f52af12, v97
	s_delay_alu instid0(VALU_DEP_3) | instskip(NEXT) | instid1(VALU_DEP_3)
	v_add_f32_e32 v60, v60, v58
	v_dual_add_f32 v136, v165, v159 :: v_dual_fmamk_f32 v159, v98, 0xbf788fa5, v143
	v_dual_fmamk_f32 v165, v103, 0xbf52af12, v149 :: v_dual_add_f32 v128, v204, v128
	v_fmac_f32_e32 v208, 0x3e750f2a, v97
	s_delay_alu instid0(VALU_DEP_4) | instskip(NEXT) | instid1(VALU_DEP_4)
	v_add_f32_e32 v60, v66, v60
	v_dual_add_f32 v136, v159, v136 :: v_dual_fmamk_f32 v159, v101, 0x3f116cb1, v148
	s_delay_alu instid0(VALU_DEP_4) | instskip(SKIP_1) | instid1(VALU_DEP_4)
	v_add_f32_e32 v129, v165, v128
	v_add_f32_e32 v66, v154, v100
	;; [unrolled: 1-line block ×5, first 2 shown]
	v_sub_f32_e32 v136, v146, v194
	v_add_f32_e32 v66, v77, v66
	v_add_f32_e32 v60, v70, v60
	v_fmac_f32_e32 v196, 0xbf6f5d39, v99
	s_delay_alu instid0(VALU_DEP_4)
	v_dual_fmac_f32 v198, 0x3f7e222b, v103 :: v_dual_add_f32 v119, v136, v120
	v_add_f32_e32 v120, v176, v132
	v_add_f32_e32 v66, v68, v66
	;; [unrolled: 1-line block ×4, first 2 shown]
	v_fmac_f32_e32 v130, 0xbf6f5d39, v91
	v_add_f32_e32 v114, v120, v114
	v_add_f32_e32 v120, v183, v138
	;; [unrolled: 1-line block ×5, first 2 shown]
	v_fmac_f32_e32 v212, 0xbf6f5d39, v103
	v_add_f32_e32 v114, v120, v114
	v_add_f32_e32 v120, v59, v78
	;; [unrolled: 1-line block ×5, first 2 shown]
	v_dual_mul_f32 v174, 0xbf3f9e67, v96 :: v_dual_mul_f32 v191, 0xbf3f9e67, v101
	v_add_f32_e32 v61, v61, v120
	v_add_f32_e32 v54, v54, v60
	s_delay_alu instid0(VALU_DEP_4) | instskip(SKIP_2) | instid1(VALU_DEP_4)
	v_add_f32_e32 v60, v64, v62
	v_fma_f32 v62, 0x3df6dbef, v92, -v209
	v_fmac_f32_e32 v144, 0xbf7e222b, v97
	v_dual_add_f32 v61, v67, v61 :: v_dual_add_f32 v56, v56, v54
	v_dual_add_f32 v67, v78, v102 :: v_dual_sub_f32 v102, v105, v161
	s_delay_alu instid0(VALU_DEP_2) | instskip(NEXT) | instid1(VALU_DEP_3)
	v_dual_fmac_f32 v140, 0x3eedf032, v95 :: v_dual_add_f32 v61, v69, v61
	v_dual_add_f32 v48, v48, v56 :: v_dual_sub_f32 v69, v107, v167
	s_delay_alu instid0(VALU_DEP_3) | instskip(SKIP_1) | instid1(VALU_DEP_3)
	v_add_f32_e32 v67, v102, v67
	v_fmac_f32_e32 v147, 0x3e750f2a, v99
	v_dual_add_f32 v61, v71, v61 :: v_dual_add_f32 v48, v50, v48
	s_delay_alu instid0(VALU_DEP_3) | instskip(SKIP_1) | instid1(VALU_DEP_3)
	v_dual_add_f32 v67, v69, v67 :: v_dual_and_b32 v64, 0xffff, v84
	v_sub_f32_e32 v69, v110, v173
	v_add_f32_e32 v61, v73, v61
	v_fmac_f32_e32 v149, 0x3f52af12, v103
	s_delay_alu instid0(VALU_DEP_4) | instskip(NEXT) | instid1(VALU_DEP_3)
	v_lshl_add_u32 v64, v64, 3, v83
	v_add_f32_e32 v61, v63, v61
	v_add_f32_e32 v63, v69, v67
	v_sub_f32_e32 v67, v115, v179
	s_delay_alu instid0(VALU_DEP_3) | instskip(SKIP_1) | instid1(VALU_DEP_3)
	v_add_f32_e32 v61, v65, v61
	v_sub_f32_e32 v65, v123, v187
	v_add_f32_e32 v63, v67, v63
	s_delay_alu instid0(VALU_DEP_3) | instskip(NEXT) | instid1(VALU_DEP_2)
	v_add_f32_e32 v61, v55, v61
	v_add_f32_e32 v55, v65, v63
	v_fma_f32 v63, 0xbf3f9e67, v92, -v217
	v_fma_f32 v65, 0x3f116cb1, v101, -v148
	s_delay_alu instid0(VALU_DEP_4) | instskip(SKIP_1) | instid1(VALU_DEP_2)
	v_add_f32_e32 v57, v57, v61
	v_add_f32_e32 v61, v186, v117
	;; [unrolled: 1-line block ×4, first 2 shown]
	s_delay_alu instid0(VALU_DEP_3) | instskip(SKIP_1) | instid1(VALU_DEP_4)
	v_add_f32_e32 v54, v61, v60
	v_fma_f32 v60, 0xbf788fa5, v90, -v192
	v_add_f32_e32 v49, v51, v49
	s_delay_alu instid0(VALU_DEP_4) | instskip(SKIP_1) | instid1(VALU_DEP_4)
	v_add_f32_e32 v51, v185, v57
	v_fma_f32 v57, 0x3f62ad3f, v92, -v195
	v_add_f32_e32 v56, v77, v60
	v_fma_f32 v60, 0xbeb58ec6, v98, -v201
	s_delay_alu instid0(VALU_DEP_4) | instskip(NEXT) | instid1(VALU_DEP_3)
	v_add_f32_e32 v50, v189, v51
	v_add_f32_e32 v51, v57, v56
	v_fma_f32 v56, 0xbf3f9e67, v94, -v197
	v_add_f32_e32 v57, v78, v200
	v_add_f32_e32 v108, v77, v108
	s_delay_alu instid0(VALU_DEP_3) | instskip(SKIP_1) | instid1(VALU_DEP_2)
	v_dual_add_f32 v50, v193, v50 :: v_dual_add_f32 v51, v56, v51
	v_fma_f32 v56, 0x3f116cb1, v96, -v199
	v_dual_add_f32 v57, v202, v57 :: v_dual_add_f32 v50, v196, v50
	s_delay_alu instid0(VALU_DEP_4) | instskip(NEXT) | instid1(VALU_DEP_2)
	v_add_f32_e32 v108, v112, v108
	v_dual_add_f32 v56, v56, v51 :: v_dual_add_f32 v57, v205, v57
	s_delay_alu instid0(VALU_DEP_3) | instskip(SKIP_1) | instid1(VALU_DEP_3)
	v_add_f32_e32 v51, v198, v50
	v_fma_f32 v50, 0xbf3f9e67, v90, -v206
	v_add_f32_e32 v56, v60, v56
	v_fma_f32 v60, 0x3df6dbef, v101, -v203
	v_add_f32_e32 v57, v208, v57
	s_delay_alu instid0(VALU_DEP_2) | instskip(NEXT) | instid1(VALU_DEP_2)
	v_dual_add_f32 v61, v77, v50 :: v_dual_add_f32 v50, v60, v56
	v_add_f32_e32 v56, v207, v57
	v_sub_f32_e32 v116, v139, v190
	v_fma_f32 v57, 0xbeb58ec6, v90, -v122
	s_delay_alu instid0(VALU_DEP_4) | instskip(SKIP_1) | instid1(VALU_DEP_4)
	v_add_f32_e32 v60, v62, v61
	v_fma_f32 v61, 0x3f116cb1, v94, -v211
	v_dual_add_f32 v62, v78, v130 :: v_dual_add_f32 v59, v116, v111
	v_fmac_f32_e32 v134, 0x3f29c268, v93
	v_dual_add_f32 v112, v168, v118 :: v_dual_add_f32 v57, v77, v57
	s_delay_alu instid0(VALU_DEP_4) | instskip(SKIP_1) | instid1(VALU_DEP_4)
	v_add_f32_e32 v60, v61, v60
	v_fma_f32 v61, 0xbf788fa5, v96, -v213
	v_dual_add_f32 v62, v134, v62 :: v_dual_add_f32 v111, v188, v131
	s_delay_alu instid0(VALU_DEP_4)
	v_add_f32_e32 v57, v63, v57
	v_fma_f32 v63, 0x3f62ad3f, v94, -v133
	v_add_f32_e32 v108, v112, v108
	v_add_f32_e32 v112, v174, v125
	;; [unrolled: 1-line block ×3, first 2 shown]
	v_fma_f32 v61, 0x3f62ad3f, v98, -v214
	v_add_f32_e32 v62, v140, v62
	v_add_f32_e32 v118, v191, v141
	v_add_f32_e32 v57, v63, v57
	v_fma_f32 v63, 0x3df6dbef, v96, -v137
	s_delay_alu instid0(VALU_DEP_4) | instskip(SKIP_2) | instid1(VALU_DEP_4)
	v_dual_add_f32 v60, v61, v60 :: v_dual_add_f32 v61, v144, v62
	v_add_f32_e32 v108, v112, v108
	v_add_f32_e32 v112, v181, v124
	v_dual_add_f32 v118, v118, v114 :: v_dual_add_f32 v57, v63, v57
	v_fma_f32 v62, 0xbf788fa5, v98, -v143
	s_delay_alu instid0(VALU_DEP_3) | instskip(SKIP_1) | instid1(VALU_DEP_3)
	v_dual_add_f32 v61, v147, v61 :: v_dual_add_f32 v108, v112, v108
	v_fma_f32 v63, 0xbeb58ec6, v101, -v215
	v_dual_add_f32 v62, v62, v57 :: v_dual_add_f32 v57, v212, v56
	s_delay_alu instid0(VALU_DEP_3) | instskip(NEXT) | instid1(VALU_DEP_3)
	v_add_f32_e32 v58, v111, v108
	v_dual_add_f32 v56, v63, v60 :: v_dual_add_f32 v61, v149, v61
	s_delay_alu instid0(VALU_DEP_3)
	v_add_f32_e32 v60, v65, v62
	ds_store_2addr_b64 v64, v[48:49], v[54:55] offset1:1
	ds_store_2addr_b64 v64, v[58:59], v[118:119] offset0:2 offset1:3
	ds_store_2addr_b64 v64, v[128:129], v[152:153] offset0:4 offset1:5
	;; [unrolled: 1-line block ×5, first 2 shown]
	ds_store_b64 v64, v[52:53] offset:96
.LBB0_17:
	s_wait_alu 0xfffe
	s_or_b32 exec_lo, exec_lo, s1
	v_add_nc_u32_e32 v48, 0x800, v85
	v_add_nc_u32_e32 v49, 0x1000, v85
	global_wb scope:SCOPE_SE
	s_wait_dscnt 0x0
	s_barrier_signal -1
	s_barrier_wait -1
	global_inv scope:SCOPE_SE
	ds_load_2addr_b64 v[54:57], v85 offset1:65
	ds_load_2addr_b64 v[70:73], v85 offset0:143 offset1:208
	ds_load_2addr_b64 v[66:69], v48 offset0:30 offset1:95
	;; [unrolled: 1-line block ×4, first 2 shown]
	s_and_saveexec_b32 s1, s0
	s_cbranch_execz .LBB0_19
; %bb.18:
	ds_load_2addr_b64 v[50:53], v48 offset0:17 offset1:160
	ds_load_b64 v[75:76], v85 offset:1040
	ds_load_2addr_b64 v[44:47], v49 offset0:47 offset1:190
	s_wait_dscnt 0x2
	v_dual_mov_b32 v79, v50 :: v_dual_mov_b32 v80, v51
.LBB0_19:
	s_wait_alu 0xfffe
	s_or_b32 exec_lo, exec_lo, s1
	s_wait_dscnt 0x3
	v_mul_f32_e32 v48, v21, v71
	s_wait_dscnt 0x0
	v_dual_mul_f32 v21, v21, v70 :: v_dual_mul_f32 v50, v15, v59
	v_mul_f32_e32 v49, v23, v67
	v_mul_f32_e32 v23, v23, v66
	v_fmac_f32_e32 v48, v20, v70
	s_delay_alu instid0(VALU_DEP_4) | instskip(SKIP_4) | instid1(VALU_DEP_4)
	v_fma_f32 v20, v20, v71, -v21
	v_dual_mul_f32 v21, v13, v63 :: v_dual_fmac_f32 v50, v14, v58
	v_mul_f32_e32 v13, v13, v62
	v_dual_fmac_f32 v49, v22, v66 :: v_dual_mul_f32 v66, v9, v65
	v_fma_f32 v22, v22, v67, -v23
	v_fmac_f32_e32 v21, v12, v62
	s_delay_alu instid0(VALU_DEP_4)
	v_fma_f32 v23, v12, v63, -v13
	v_dual_mul_f32 v12, v15, v58 :: v_dual_mul_f32 v51, v17, v73
	v_mul_f32_e32 v58, v19, v69
	v_mul_f32_e32 v67, v11, v61
	global_wb scope:SCOPE_SE
	v_fma_f32 v59, v14, v59, -v12
	v_add_f32_e32 v14, v54, v48
	v_fmac_f32_e32 v58, v18, v68
	v_dual_mul_f32 v15, v19, v68 :: v_dual_add_f32 v12, v49, v21
	v_fmac_f32_e32 v51, v16, v72
	v_fmac_f32_e32 v66, v8, v64
	;; [unrolled: 1-line block ×3, first 2 shown]
	s_delay_alu instid0(VALU_DEP_4)
	v_fma_f32 v63, v18, v69, -v15
	v_add_f32_e32 v18, v48, v50
	v_sub_f32_e32 v15, v20, v59
	v_mul_f32_e32 v13, v17, v72
	s_barrier_signal -1
	s_barrier_wait -1
	global_inv scope:SCOPE_SE
	v_fma_f32 v62, v16, v73, -v13
	v_mul_f32_e32 v13, v9, v64
	v_fma_f32 v9, -0.5, v12, v54
	v_sub_f32_e32 v16, v50, v21
	s_delay_alu instid0(VALU_DEP_3) | instskip(SKIP_2) | instid1(VALU_DEP_2)
	v_fma_f32 v8, v8, v65, -v13
	v_add_f32_e32 v13, v14, v49
	v_sub_f32_e32 v14, v48, v49
	v_dual_fmamk_f32 v12, v15, 0xbf737871, v9 :: v_dual_add_f32 v13, v13, v21
	s_delay_alu instid0(VALU_DEP_2) | instskip(SKIP_2) | instid1(VALU_DEP_4)
	v_add_f32_e32 v19, v14, v16
	v_fma_f32 v14, -0.5, v18, v54
	v_dual_add_f32 v54, v55, v20 :: v_dual_sub_f32 v17, v22, v23
	v_add_f32_e32 v16, v13, v50
	v_sub_f32_e32 v13, v21, v50
	v_sub_f32_e32 v21, v49, v21
	s_delay_alu instid0(VALU_DEP_4) | instskip(SKIP_3) | instid1(VALU_DEP_4)
	v_fmac_f32_e32 v12, 0xbf167918, v17
	v_dual_fmamk_f32 v18, v17, 0x3f737871, v14 :: v_dual_mul_f32 v11, v11, v60
	v_fmac_f32_e32 v9, 0x3f737871, v15
	v_add_f32_e32 v60, v22, v23
	v_fmac_f32_e32 v12, 0x3e9e377a, v19
	v_fmac_f32_e32 v14, 0xbf737871, v17
	v_fma_f32 v11, v10, v61, -v11
	v_dual_sub_f32 v10, v49, v48 :: v_dual_fmac_f32 v9, 0x3f167918, v17
	v_sub_f32_e32 v48, v48, v50
	s_delay_alu instid0(VALU_DEP_2)
	v_dual_fmac_f32 v18, 0xbf167918, v15 :: v_dual_add_f32 v61, v10, v13
	v_add_f32_e32 v13, v54, v22
	v_fma_f32 v10, -0.5, v60, v55
	v_fmac_f32_e32 v14, 0x3f167918, v15
	v_add_f32_e32 v15, v20, v59
	v_dual_fmac_f32 v9, 0x3e9e377a, v19 :: v_dual_fmac_f32 v18, 0x3e9e377a, v61
	s_delay_alu instid0(VALU_DEP_3)
	v_dual_add_f32 v17, v13, v23 :: v_dual_fmac_f32 v14, 0x3e9e377a, v61
	v_fmamk_f32 v13, v48, 0x3f737871, v10
	v_dual_fmac_f32 v10, 0xbf737871, v48 :: v_dual_sub_f32 v19, v20, v22
	v_sub_f32_e32 v49, v59, v23
	v_fma_f32 v15, -0.5, v15, v55
	v_sub_f32_e32 v20, v22, v20
	s_delay_alu instid0(VALU_DEP_4) | instskip(SKIP_3) | instid1(VALU_DEP_3)
	v_fmac_f32_e32 v10, 0xbf167918, v21
	v_dual_sub_f32 v22, v23, v59 :: v_dual_add_f32 v23, v58, v66
	v_add_f32_e32 v17, v17, v59
	v_dual_fmac_f32 v13, 0x3f167918, v21 :: v_dual_sub_f32 v54, v67, v66
	v_add_f32_e32 v50, v20, v22
	s_delay_alu instid0(VALU_DEP_4)
	v_fma_f32 v20, -0.5, v23, v56
	v_sub_f32_e32 v23, v62, v11
	v_add_f32_e32 v49, v19, v49
	v_fmamk_f32 v19, v21, 0xbf737871, v15
	v_fmac_f32_e32 v15, 0x3f737871, v21
	v_sub_f32_e32 v59, v51, v67
	v_fmamk_f32 v22, v23, 0xbf737871, v20
	v_fmac_f32_e32 v20, 0x3f737871, v23
	v_fmac_f32_e32 v19, 0x3f167918, v48
	v_dual_fmac_f32 v15, 0xbf167918, v48 :: v_dual_sub_f32 v48, v51, v58
	v_fmac_f32_e32 v13, 0x3e9e377a, v49
	v_fmac_f32_e32 v10, 0x3e9e377a, v49
	v_sub_f32_e32 v60, v63, v62
	s_delay_alu instid0(VALU_DEP_4) | instskip(SKIP_3) | instid1(VALU_DEP_3)
	v_fmac_f32_e32 v15, 0x3e9e377a, v50
	v_dual_add_f32 v54, v48, v54 :: v_dual_sub_f32 v49, v63, v8
	v_add_f32_e32 v21, v56, v51
	v_fmac_f32_e32 v19, 0x3e9e377a, v50
	v_fmac_f32_e32 v22, 0xbf167918, v49
	s_delay_alu instid0(VALU_DEP_1) | instskip(SKIP_1) | instid1(VALU_DEP_1)
	v_fmac_f32_e32 v22, 0x3e9e377a, v54
	v_dual_fmac_f32 v20, 0x3f167918, v49 :: v_dual_add_f32 v55, v51, v67
	v_fmac_f32_e32 v20, 0x3e9e377a, v54
	s_delay_alu instid0(VALU_DEP_2) | instskip(SKIP_1) | instid1(VALU_DEP_2)
	v_fma_f32 v56, -0.5, v55, v56
	v_dual_add_f32 v21, v21, v58 :: v_dual_sub_f32 v54, v58, v51
	v_dual_sub_f32 v55, v66, v67 :: v_dual_fmamk_f32 v50, v49, 0x3f737871, v56
	s_delay_alu instid0(VALU_DEP_2) | instskip(NEXT) | instid1(VALU_DEP_2)
	v_dual_fmac_f32 v56, 0xbf737871, v49 :: v_dual_add_f32 v21, v21, v66
	v_add_f32_e32 v51, v54, v55
	v_add_f32_e32 v54, v62, v11
	s_delay_alu instid0(VALU_DEP_3) | instskip(NEXT) | instid1(VALU_DEP_4)
	v_fmac_f32_e32 v56, 0x3f167918, v23
	v_dual_add_f32 v48, v21, v67 :: v_dual_add_f32 v21, v63, v8
	v_dual_fmac_f32 v50, 0xbf167918, v23 :: v_dual_add_f32 v49, v57, v62
	s_delay_alu instid0(VALU_DEP_3) | instskip(NEXT) | instid1(VALU_DEP_3)
	v_dual_sub_f32 v55, v58, v66 :: v_dual_fmac_f32 v56, 0x3e9e377a, v51
	v_fma_f32 v21, -0.5, v21, v57
	s_delay_alu instid0(VALU_DEP_3) | instskip(NEXT) | instid1(VALU_DEP_4)
	v_fmac_f32_e32 v50, 0x3e9e377a, v51
	v_add_f32_e32 v49, v49, v63
	v_dual_fmac_f32 v57, -0.5, v54 :: v_dual_sub_f32 v54, v62, v63
	v_sub_f32_e32 v58, v11, v8
	s_delay_alu instid0(VALU_DEP_3) | instskip(NEXT) | instid1(VALU_DEP_3)
	v_add_f32_e32 v49, v49, v8
	v_dual_fmamk_f32 v51, v55, 0xbf737871, v57 :: v_dual_sub_f32 v8, v8, v11
	s_delay_alu instid0(VALU_DEP_3) | instskip(SKIP_2) | instid1(VALU_DEP_4)
	v_dual_add_f32 v54, v54, v58 :: v_dual_fmamk_f32 v23, v59, 0x3f737871, v21
	v_fmac_f32_e32 v57, 0x3f737871, v55
	v_fmac_f32_e32 v21, 0xbf737871, v59
	v_dual_fmac_f32 v51, 0x3f167918, v59 :: v_dual_add_f32 v8, v60, v8
	s_delay_alu instid0(VALU_DEP_4) | instskip(NEXT) | instid1(VALU_DEP_4)
	v_fmac_f32_e32 v23, 0x3f167918, v55
	v_fmac_f32_e32 v57, 0xbf167918, v59
	s_delay_alu instid0(VALU_DEP_4)
	v_fmac_f32_e32 v21, 0xbf167918, v55
	v_add_f32_e32 v49, v49, v11
	v_fmac_f32_e32 v51, 0x3e9e377a, v8
	v_fmac_f32_e32 v23, 0x3e9e377a, v54
	;; [unrolled: 1-line block ×4, first 2 shown]
	ds_store_2addr_b64 v88, v[16:17], v[12:13] offset1:13
	ds_store_2addr_b64 v88, v[18:19], v[14:15] offset0:26 offset1:39
	ds_store_b64 v88, v[9:10] offset:416
	ds_store_2addr_b64 v87, v[48:49], v[22:23] offset1:13
	ds_store_2addr_b64 v87, v[50:51], v[56:57] offset0:26 offset1:39
	ds_store_b64 v87, v[20:21] offset:416
	s_and_saveexec_b32 s1, s0
	s_cbranch_execz .LBB0_21
; %bb.20:
	v_dual_mul_f32 v8, v5, v79 :: v_dual_mul_f32 v9, v3, v46
	v_mul_f32_e32 v12, v1, v45
	v_mul_f32_e32 v11, v7, v53
	v_dual_mul_f32 v13, v5, v80 :: v_dual_mul_f32 v14, v3, v47
	v_mul_f32_e32 v10, v7, v52
	v_fma_f32 v8, v4, v80, -v8
	v_fma_f32 v9, v2, v47, -v9
	s_delay_alu instid0(VALU_DEP_4) | instskip(SKIP_4) | instid1(VALU_DEP_4)
	v_fmac_f32_e32 v13, v4, v79
	v_mul_f32_e32 v1, v1, v44
	v_fma_f32 v10, v6, v53, -v10
	v_fmac_f32_e32 v12, v0, v44
	v_dual_fmac_f32 v11, v6, v52 :: v_dual_add_f32 v6, v8, v9
	v_fma_f32 v15, v0, v45, -v1
	v_add_f32_e32 v17, v76, v8
	s_delay_alu instid0(VALU_DEP_3) | instskip(NEXT) | instid1(VALU_DEP_4)
	v_sub_f32_e32 v0, v11, v12
	v_fma_f32 v1, -0.5, v6, v76
	s_delay_alu instid0(VALU_DEP_4) | instskip(SKIP_1) | instid1(VALU_DEP_3)
	v_add_f32_e32 v5, v10, v15
	v_fmac_f32_e32 v14, v2, v46
	v_dual_sub_f32 v4, v15, v9 :: v_dual_fmamk_f32 v3, v0, 0x3f737871, v1
	s_delay_alu instid0(VALU_DEP_2) | instskip(SKIP_2) | instid1(VALU_DEP_2)
	v_dual_fmac_f32 v1, 0xbf737871, v0 :: v_dual_sub_f32 v6, v13, v14
	v_sub_f32_e32 v2, v10, v8
	v_fma_f32 v5, -0.5, v5, v76
	v_dual_fmac_f32 v3, 0xbf167918, v6 :: v_dual_add_f32 v2, v2, v4
	s_delay_alu instid0(VALU_DEP_4) | instskip(NEXT) | instid1(VALU_DEP_3)
	v_fmac_f32_e32 v1, 0x3f167918, v6
	v_dual_sub_f32 v4, v8, v10 :: v_dual_fmamk_f32 v7, v6, 0xbf737871, v5
	s_delay_alu instid0(VALU_DEP_3) | instskip(SKIP_1) | instid1(VALU_DEP_3)
	v_dual_sub_f32 v16, v9, v15 :: v_dual_fmac_f32 v3, 0x3e9e377a, v2
	v_fmac_f32_e32 v5, 0x3f737871, v6
	v_dual_add_f32 v6, v17, v10 :: v_dual_fmac_f32 v7, 0xbf167918, v0
	s_delay_alu instid0(VALU_DEP_3) | instskip(NEXT) | instid1(VALU_DEP_3)
	v_add_f32_e32 v4, v4, v16
	v_dual_add_f32 v16, v13, v14 :: v_dual_fmac_f32 v5, 0x3f167918, v0
	v_dual_sub_f32 v10, v10, v15 :: v_dual_fmac_f32 v1, 0x3e9e377a, v2
	s_delay_alu instid0(VALU_DEP_3) | instskip(NEXT) | instid1(VALU_DEP_3)
	v_dual_add_f32 v6, v6, v15 :: v_dual_fmac_f32 v7, 0x3e9e377a, v4
	v_fma_f32 v0, -0.5, v16, v75
	v_dual_sub_f32 v15, v11, v13 :: v_dual_sub_f32 v16, v12, v14
	v_dual_sub_f32 v8, v8, v9 :: v_dual_add_f32 v17, v11, v12
	s_delay_alu instid0(VALU_DEP_3) | instskip(SKIP_1) | instid1(VALU_DEP_4)
	v_fmamk_f32 v2, v10, 0xbf737871, v0
	v_fmac_f32_e32 v5, 0x3e9e377a, v4
	v_add_f32_e32 v15, v15, v16
	v_add_f32_e32 v16, v75, v13
	v_fma_f32 v4, -0.5, v17, v75
	v_dual_add_f32 v9, v6, v9 :: v_dual_fmac_f32 v2, 0x3f167918, v8
	v_sub_f32_e32 v13, v13, v11
	s_delay_alu instid0(VALU_DEP_3) | instskip(SKIP_1) | instid1(VALU_DEP_4)
	v_dual_sub_f32 v17, v14, v12 :: v_dual_fmamk_f32 v6, v8, 0x3f737871, v4
	v_dual_fmac_f32 v4, 0xbf737871, v8 :: v_dual_add_f32 v11, v16, v11
	v_fmac_f32_e32 v2, 0x3e9e377a, v15
	s_delay_alu instid0(VALU_DEP_3) | instskip(NEXT) | instid1(VALU_DEP_3)
	v_dual_fmac_f32 v0, 0x3f737871, v10 :: v_dual_add_f32 v13, v13, v17
	v_dual_fmac_f32 v4, 0xbf167918, v10 :: v_dual_add_f32 v11, v11, v12
	v_lshl_add_u32 v12, v89, 3, v83
	s_delay_alu instid0(VALU_DEP_3) | instskip(SKIP_1) | instid1(VALU_DEP_4)
	v_fmac_f32_e32 v0, 0xbf167918, v8
	v_fmac_f32_e32 v6, 0x3f167918, v10
	v_fmac_f32_e32 v4, 0x3e9e377a, v13
	v_add_f32_e32 v8, v11, v14
	v_add_nc_u32_e32 v10, 0x1000, v12
	v_fmac_f32_e32 v0, 0x3e9e377a, v15
	v_fmac_f32_e32 v6, 0x3e9e377a, v13
	ds_store_2addr_b64 v10, v[8:9], v[4:5] offset0:138 offset1:151
	ds_store_2addr_b64 v10, v[0:1], v[2:3] offset0:164 offset1:177
	ds_store_b64 v12, v[6:7] offset:5616
.LBB0_21:
	s_wait_alu 0xfffe
	s_or_b32 exec_lo, exec_lo, s1
	global_wb scope:SCOPE_SE
	s_wait_dscnt 0x0
	s_barrier_signal -1
	s_barrier_wait -1
	global_inv scope:SCOPE_SE
	ds_load_2addr_b64 v[0:3], v85 offset1:65
	ds_load_2addr_b64 v[4:7], v85 offset0:130 offset1:195
	v_add_nc_u32_e32 v12, 0x800, v85
	s_wait_dscnt 0x1
	v_dual_mul_f32 v23, v41, v2 :: v_dual_add_nc_u32 v16, 0x1000, v85
	ds_load_2addr_b64 v[8:11], v12 offset0:4 offset1:69
	s_wait_dscnt 0x1
	v_dual_mul_f32 v22, v41, v3 :: v_dual_mul_f32 v41, v43, v5
	v_mul_f32_e32 v43, v43, v4
	ds_load_2addr_b64 v[12:15], v12 offset0:134 offset1:199
	ds_load_b64 v[20:21], v85 offset:5200
	ds_load_2addr_b64 v[16:19], v16 offset0:8 offset1:73
	v_mul_f32_e32 v44, v37, v7
	v_mul_f32_e32 v37, v37, v6
	v_fmac_f32_e32 v22, v40, v2
	v_fma_f32 v2, v40, v3, -v23
	v_fmac_f32_e32 v41, v42, v4
	v_fma_f32 v4, v42, v5, -v43
	v_fmac_f32_e32 v44, v36, v6
	s_wait_dscnt 0x3
	v_mul_f32_e32 v6, v39, v9
	v_fma_f32 v5, v36, v7, -v37
	v_mul_f32_e32 v7, v29, v11
	v_mul_f32_e32 v23, v29, v10
	s_wait_dscnt 0x2
	v_dual_mul_f32 v29, v31, v13 :: v_dual_fmac_f32 v6, v38, v8
	v_mul_f32_e32 v3, v39, v8
	v_fmac_f32_e32 v7, v28, v10
	v_fma_f32 v10, v28, v11, -v23
	s_delay_alu instid0(VALU_DEP_4) | instskip(SKIP_4) | instid1(VALU_DEP_4)
	v_fmac_f32_e32 v29, v30, v12
	v_dual_mul_f32 v11, v31, v12 :: v_dual_mul_f32 v12, v25, v15
	v_mul_f32_e32 v23, v25, v14
	v_fma_f32 v8, v38, v9, -v3
	v_add_f32_e32 v9, v1, v2
	v_fma_f32 v11, v30, v13, -v11
	v_fmac_f32_e32 v12, v24, v14
	s_wait_dscnt 0x0
	v_dual_mul_f32 v14, v27, v17 :: v_dual_add_f32 v3, v0, v22
	v_fma_f32 v13, v24, v15, -v23
	v_mul_f32_e32 v15, v27, v16
	s_delay_alu instid0(VALU_DEP_3) | instskip(SKIP_1) | instid1(VALU_DEP_3)
	v_dual_mul_f32 v23, v33, v19 :: v_dual_fmac_f32 v14, v26, v16
	v_mul_f32_e32 v16, v35, v20
	v_fma_f32 v15, v26, v17, -v15
	s_delay_alu instid0(VALU_DEP_3) | instskip(SKIP_1) | instid1(VALU_DEP_4)
	v_fmac_f32_e32 v23, v32, v18
	v_dual_mul_f32 v17, v35, v21 :: v_dual_mul_f32 v18, v33, v18
	v_fma_f32 v16, v34, v21, -v16
	s_delay_alu instid0(VALU_DEP_2) | instskip(NEXT) | instid1(VALU_DEP_3)
	v_fmac_f32_e32 v17, v34, v20
	v_fma_f32 v18, v32, v19, -v18
	s_delay_alu instid0(VALU_DEP_3) | instskip(NEXT) | instid1(VALU_DEP_3)
	v_sub_f32_e32 v19, v2, v16
	v_dual_add_f32 v9, v9, v4 :: v_dual_add_f32 v20, v22, v17
	s_delay_alu instid0(VALU_DEP_2) | instskip(NEXT) | instid1(VALU_DEP_1)
	v_dual_add_f32 v21, v2, v16 :: v_dual_mul_f32 v34, 0xbf4178ce, v19
	v_fmamk_f32 v36, v20, 0xbf27a4f4, v34
	v_fma_f32 v34, 0xbf27a4f4, v20, -v34
	s_delay_alu instid0(VALU_DEP_2) | instskip(NEXT) | instid1(VALU_DEP_2)
	v_add_f32_e32 v36, v0, v36
	v_dual_add_f32 v34, v0, v34 :: v_dual_add_f32 v3, v3, v41
	v_mul_f32_e32 v24, 0xbf0a6770, v19
	s_delay_alu instid0(VALU_DEP_2) | instskip(NEXT) | instid1(VALU_DEP_2)
	v_dual_mul_f32 v28, 0xbf7d64f0, v19 :: v_dual_add_f32 v3, v3, v44
	v_fmamk_f32 v25, v20, 0x3f575c64, v24
	s_delay_alu instid0(VALU_DEP_2) | instskip(SKIP_2) | instid1(VALU_DEP_3)
	v_fmamk_f32 v32, v20, 0xbe11bafb, v28
	v_fma_f32 v28, 0xbe11bafb, v20, -v28
	v_fma_f32 v24, 0x3f575c64, v20, -v24
	v_dual_add_f32 v3, v3, v6 :: v_dual_add_f32 v32, v0, v32
	s_delay_alu instid0(VALU_DEP_3) | instskip(NEXT) | instid1(VALU_DEP_2)
	v_add_f32_e32 v28, v0, v28
	v_dual_add_f32 v24, v0, v24 :: v_dual_add_f32 v3, v3, v7
	s_delay_alu instid0(VALU_DEP_1) | instskip(NEXT) | instid1(VALU_DEP_1)
	v_add_f32_e32 v3, v3, v29
	v_add_f32_e32 v3, v3, v12
	s_delay_alu instid0(VALU_DEP_1) | instskip(NEXT) | instid1(VALU_DEP_1)
	v_add_f32_e32 v3, v3, v14
	v_dual_add_f32 v9, v9, v5 :: v_dual_add_f32 v2, v3, v23
	s_delay_alu instid0(VALU_DEP_1) | instskip(NEXT) | instid1(VALU_DEP_1)
	v_dual_add_f32 v9, v9, v8 :: v_dual_add_f32 v2, v2, v17
	v_add_f32_e32 v9, v9, v10
	s_delay_alu instid0(VALU_DEP_1) | instskip(NEXT) | instid1(VALU_DEP_1)
	v_add_f32_e32 v9, v9, v11
	v_add_f32_e32 v9, v9, v13
	s_delay_alu instid0(VALU_DEP_1) | instskip(NEXT) | instid1(VALU_DEP_1)
	v_add_f32_e32 v9, v9, v15
	v_add_f32_e32 v3, v9, v18
	s_delay_alu instid0(VALU_DEP_1) | instskip(SKIP_1) | instid1(VALU_DEP_2)
	v_dual_add_f32 v3, v3, v16 :: v_dual_mul_f32 v16, 0xbf68dda4, v19
	v_mul_f32_e32 v19, 0xbe903f40, v19
	v_fmamk_f32 v26, v20, 0x3ed4b147, v16
	s_delay_alu instid0(VALU_DEP_2) | instskip(SKIP_2) | instid1(VALU_DEP_3)
	v_dual_fmamk_f32 v38, v20, 0xbf75a155, v19 :: v_dual_sub_f32 v9, v22, v17
	v_mul_f32_e32 v22, 0x3f575c64, v21
	v_mul_f32_e32 v35, 0xbf27a4f4, v21
	v_dual_mul_f32 v27, 0x3ed4b147, v21 :: v_dual_add_f32 v38, v0, v38
	v_fma_f32 v16, 0x3ed4b147, v20, -v16
	s_delay_alu instid0(VALU_DEP_4) | instskip(SKIP_2) | instid1(VALU_DEP_4)
	v_fmamk_f32 v17, v9, 0x3f0a6770, v22
	v_fmac_f32_e32 v22, 0xbf0a6770, v9
	v_fmamk_f32 v37, v9, 0x3f4178ce, v35
	v_dual_fmac_f32 v35, 0xbf4178ce, v9 :: v_dual_add_f32 v16, v0, v16
	v_fma_f32 v19, 0xbf75a155, v20, -v19
	s_delay_alu instid0(VALU_DEP_4) | instskip(NEXT) | instid1(VALU_DEP_3)
	v_dual_add_f32 v22, v1, v22 :: v_dual_mul_f32 v31, 0xbe11bafb, v21
	v_add_f32_e32 v35, v1, v35
	v_dual_mul_f32 v21, 0xbf75a155, v21 :: v_dual_add_f32 v26, v0, v26
	s_delay_alu instid0(VALU_DEP_1)
	v_fmamk_f32 v40, v9, 0x3e903f40, v21
	ds_store_b64 v86, v[2:3]
	v_add_nc_u32_e32 v3, 0x400, v86
	v_add_nc_u32_e32 v2, 0x1000, v86
	v_add_f32_e32 v40, v1, v40
	v_fmamk_f32 v30, v9, 0x3f68dda4, v27
	v_fmac_f32_e32 v27, 0xbf68dda4, v9
	s_delay_alu instid0(VALU_DEP_2)
	v_dual_fmac_f32 v21, 0xbe903f40, v9 :: v_dual_add_f32 v30, v1, v30
	v_fmamk_f32 v33, v9, 0x3f7d64f0, v31
	v_fmac_f32_e32 v31, 0xbf7d64f0, v9
	v_sub_f32_e32 v9, v41, v23
	v_sub_f32_e32 v39, v4, v18
	v_add_f32_e32 v4, v4, v18
	v_dual_add_f32 v18, v41, v23 :: v_dual_add_f32 v25, v0, v25
	v_dual_add_f32 v17, v1, v17 :: v_dual_add_f32 v0, v0, v19
	s_delay_alu instid0(VALU_DEP_4) | instskip(NEXT) | instid1(VALU_DEP_4)
	v_mul_f32_e32 v20, 0xbf68dda4, v39
	v_dual_add_f32 v31, v1, v31 :: v_dual_mul_f32 v42, 0xbf75a155, v4
	s_delay_alu instid0(VALU_DEP_2) | instskip(SKIP_1) | instid1(VALU_DEP_2)
	v_fmamk_f32 v41, v18, 0x3ed4b147, v20
	v_fma_f32 v20, 0x3ed4b147, v18, -v20
	v_add_f32_e32 v25, v41, v25
	v_mul_f32_e32 v23, 0x3ed4b147, v4
	v_mul_f32_e32 v41, 0xbf27a4f4, v4
	s_delay_alu instid0(VALU_DEP_2) | instskip(SKIP_1) | instid1(VALU_DEP_3)
	v_dual_add_f32 v20, v20, v24 :: v_dual_fmamk_f32 v19, v9, 0x3f68dda4, v23
	v_fmac_f32_e32 v23, 0xbf68dda4, v9
	v_fmamk_f32 v24, v9, 0x3f4178ce, v41
	v_add_f32_e32 v37, v1, v37
	s_delay_alu instid0(VALU_DEP_4) | instskip(NEXT) | instid1(VALU_DEP_4)
	v_add_f32_e32 v17, v19, v17
	v_dual_add_f32 v22, v23, v22 :: v_dual_mul_f32 v23, 0x3e903f40, v39
	s_delay_alu instid0(VALU_DEP_4)
	v_dual_add_f32 v27, v1, v27 :: v_dual_add_f32 v24, v24, v30
	v_add_f32_e32 v33, v1, v33
	v_add_f32_e32 v1, v1, v21
	v_mul_f32_e32 v21, 0xbf4178ce, v39
	v_mul_f32_e32 v30, 0x3f7d64f0, v39
	;; [unrolled: 1-line block ×3, first 2 shown]
	s_delay_alu instid0(VALU_DEP_3) | instskip(SKIP_1) | instid1(VALU_DEP_2)
	v_fmamk_f32 v19, v18, 0xbf27a4f4, v21
	v_fma_f32 v21, 0xbf27a4f4, v18, -v21
	v_dual_add_f32 v19, v19, v26 :: v_dual_fmamk_f32 v26, v18, 0xbf75a155, v23
	s_delay_alu instid0(VALU_DEP_2) | instskip(SKIP_1) | instid1(VALU_DEP_3)
	v_add_f32_e32 v16, v21, v16
	v_fma_f32 v23, 0xbf75a155, v18, -v23
	v_dual_add_f32 v26, v26, v32 :: v_dual_fmac_f32 v41, 0xbf4178ce, v9
	v_mul_f32_e32 v32, 0xbe11bafb, v4
	v_mul_f32_e32 v4, 0x3f575c64, v4
	s_delay_alu instid0(VALU_DEP_4) | instskip(NEXT) | instid1(VALU_DEP_4)
	v_add_f32_e32 v23, v23, v28
	v_add_f32_e32 v21, v41, v27
	v_fmamk_f32 v27, v9, 0xbe903f40, v42
	s_delay_alu instid0(VALU_DEP_1) | instskip(SKIP_2) | instid1(VALU_DEP_2)
	v_add_f32_e32 v27, v27, v33
	v_fmamk_f32 v33, v18, 0xbe11bafb, v30
	v_fma_f32 v30, 0xbe11bafb, v18, -v30
	v_dual_add_f32 v33, v33, v36 :: v_dual_fmamk_f32 v36, v18, 0x3f575c64, v39
	v_fmamk_f32 v28, v9, 0xbf7d64f0, v32
	v_fmac_f32_e32 v32, 0x3f7d64f0, v9
	s_delay_alu instid0(VALU_DEP_4)
	v_add_f32_e32 v30, v30, v34
	v_sub_f32_e32 v34, v5, v15
	v_fmac_f32_e32 v42, 0x3e903f40, v9
	v_add_f32_e32 v28, v28, v37
	v_add_f32_e32 v32, v32, v35
	;; [unrolled: 1-line block ×3, first 2 shown]
	v_dual_add_f32 v35, v36, v38 :: v_dual_fmamk_f32 v36, v9, 0xbf0a6770, v4
	v_mul_f32_e32 v38, 0xbf7d64f0, v34
	v_dual_fmac_f32 v4, 0x3f0a6770, v9 :: v_dual_sub_f32 v9, v44, v14
	v_add_f32_e32 v37, v44, v14
	v_fma_f32 v15, 0x3f575c64, v18, -v39
	v_dual_mul_f32 v18, 0xbe11bafb, v5 :: v_dual_add_f32 v31, v42, v31
	s_delay_alu instid0(VALU_DEP_3) | instskip(NEXT) | instid1(VALU_DEP_3)
	v_dual_add_f32 v1, v4, v1 :: v_dual_fmamk_f32 v14, v37, 0xbe11bafb, v38
	v_dual_add_f32 v0, v15, v0 :: v_dual_mul_f32 v15, 0x3e903f40, v34
	v_add_f32_e32 v36, v36, v40
	s_delay_alu instid0(VALU_DEP_3) | instskip(SKIP_4) | instid1(VALU_DEP_4)
	v_add_f32_e32 v4, v14, v25
	v_fmamk_f32 v14, v9, 0x3f7d64f0, v18
	v_fma_f32 v25, 0xbe11bafb, v37, -v38
	v_fmac_f32_e32 v18, 0xbf7d64f0, v9
	v_mul_f32_e32 v38, 0xbf75a155, v5
	v_add_f32_e32 v14, v14, v17
	s_delay_alu instid0(VALU_DEP_4) | instskip(NEXT) | instid1(VALU_DEP_4)
	v_add_f32_e32 v20, v25, v20
	v_add_f32_e32 v18, v18, v22
	s_delay_alu instid0(VALU_DEP_4) | instskip(SKIP_2) | instid1(VALU_DEP_2)
	v_fmamk_f32 v22, v9, 0xbe903f40, v38
	v_fmamk_f32 v17, v37, 0xbf75a155, v15
	v_mul_f32_e32 v25, 0x3f68dda4, v34
	v_add_f32_e32 v17, v17, v19
	s_delay_alu instid0(VALU_DEP_2) | instskip(SKIP_2) | instid1(VALU_DEP_3)
	v_dual_add_f32 v19, v22, v24 :: v_dual_fmamk_f32 v22, v37, 0x3ed4b147, v25
	v_mul_f32_e32 v24, 0x3ed4b147, v5
	v_fmac_f32_e32 v38, 0x3e903f40, v9
	v_add_f32_e32 v22, v22, v26
	s_delay_alu instid0(VALU_DEP_3) | instskip(SKIP_2) | instid1(VALU_DEP_3)
	v_fmamk_f32 v26, v9, 0xbf68dda4, v24
	v_fmac_f32_e32 v24, 0x3f68dda4, v9
	v_mul_f32_e32 v39, 0x3f575c64, v5
	v_dual_mul_f32 v5, 0xbf27a4f4, v5 :: v_dual_add_f32 v26, v26, v27
	v_fma_f32 v15, 0xbf75a155, v37, -v15
	s_delay_alu instid0(VALU_DEP_4) | instskip(NEXT) | instid1(VALU_DEP_2)
	v_dual_add_f32 v24, v24, v31 :: v_dual_mul_f32 v31, 0xbf4178ce, v34
	v_dual_add_f32 v15, v15, v16 :: v_dual_add_f32 v16, v38, v21
	v_dual_mul_f32 v21, 0xbf0a6770, v34 :: v_dual_add_f32 v34, v6, v12
	v_dual_sub_f32 v6, v6, v12 :: v_dual_fmamk_f32 v27, v9, 0x3f0a6770, v39
	v_fma_f32 v25, 0x3ed4b147, v37, -v25
	s_delay_alu instid0(VALU_DEP_3) | instskip(SKIP_2) | instid1(VALU_DEP_1)
	v_fmamk_f32 v38, v37, 0x3f575c64, v21
	v_fma_f32 v21, 0x3f575c64, v37, -v21
	v_fmac_f32_e32 v39, 0xbf0a6770, v9
	v_dual_add_f32 v21, v21, v30 :: v_dual_add_f32 v30, v39, v32
	v_sub_f32_e32 v32, v8, v13
	s_delay_alu instid0(VALU_DEP_1) | instskip(NEXT) | instid1(VALU_DEP_1)
	v_dual_add_f32 v8, v8, v13 :: v_dual_mul_f32 v13, 0xbf4178ce, v32
	v_dual_add_f32 v23, v25, v23 :: v_dual_fmamk_f32 v12, v34, 0xbf27a4f4, v13
	s_delay_alu instid0(VALU_DEP_1) | instskip(SKIP_2) | instid1(VALU_DEP_2)
	v_add_f32_e32 v4, v12, v4
	v_fma_f32 v12, 0xbf27a4f4, v34, -v13
	v_add_f32_e32 v27, v27, v28
	v_add_f32_e32 v12, v12, v20
	v_fmamk_f32 v28, v37, 0xbf27a4f4, v31
	v_fma_f32 v31, 0xbf27a4f4, v37, -v31
	v_add_f32_e32 v25, v38, v33
	v_fmamk_f32 v33, v9, 0x3f4178ce, v5
	v_fmac_f32_e32 v5, 0xbf4178ce, v9
	v_mul_f32_e32 v9, 0xbf27a4f4, v8
	v_add_f32_e32 v0, v31, v0
	v_mul_f32_e32 v20, 0x3f575c64, v8
	s_delay_alu instid0(VALU_DEP_4) | instskip(NEXT) | instid1(VALU_DEP_4)
	v_dual_add_f32 v28, v28, v35 :: v_dual_add_f32 v1, v5, v1
	v_fmamk_f32 v31, v6, 0x3f4178ce, v9
	v_fmac_f32_e32 v9, 0xbf4178ce, v6
	s_delay_alu instid0(VALU_DEP_2) | instskip(SKIP_1) | instid1(VALU_DEP_1)
	v_dual_mul_f32 v5, 0x3f7d64f0, v32 :: v_dual_add_f32 v14, v31, v14
	v_mul_f32_e32 v31, 0xbe11bafb, v8
	v_dual_add_f32 v9, v9, v18 :: v_dual_fmamk_f32 v18, v6, 0xbf7d64f0, v31
	s_delay_alu instid0(VALU_DEP_1) | instskip(NEXT) | instid1(VALU_DEP_1)
	v_dual_fmac_f32 v31, 0x3f7d64f0, v6 :: v_dual_add_f32 v18, v18, v19
	v_add_f32_e32 v16, v31, v16
	v_add_f32_e32 v33, v33, v36
	v_fmamk_f32 v13, v34, 0xbe11bafb, v5
	v_fma_f32 v5, 0xbe11bafb, v34, -v5
	s_delay_alu instid0(VALU_DEP_2) | instskip(NEXT) | instid1(VALU_DEP_2)
	v_add_f32_e32 v13, v13, v17
	v_add_f32_e32 v15, v5, v15
	v_mul_f32_e32 v17, 0xbf0a6770, v32
	v_fmamk_f32 v5, v6, 0x3f0a6770, v20
	v_fmac_f32_e32 v20, 0xbf0a6770, v6
	s_delay_alu instid0(VALU_DEP_2) | instskip(SKIP_1) | instid1(VALU_DEP_2)
	v_dual_fmamk_f32 v35, v34, 0x3f575c64, v17 :: v_dual_add_f32 v26, v5, v26
	v_fma_f32 v17, 0x3f575c64, v34, -v17
	v_dual_add_f32 v20, v20, v24 :: v_dual_add_f32 v19, v35, v22
	v_mul_f32_e32 v22, 0xbe903f40, v32
	v_mul_f32_e32 v5, 0xbf75a155, v8
	s_delay_alu instid0(VALU_DEP_4) | instskip(NEXT) | instid1(VALU_DEP_3)
	v_dual_mul_f32 v8, 0x3ed4b147, v8 :: v_dual_add_f32 v17, v17, v23
	v_fmamk_f32 v31, v34, 0xbf75a155, v22
	s_delay_alu instid0(VALU_DEP_3) | instskip(SKIP_1) | instid1(VALU_DEP_2)
	v_fmamk_f32 v24, v6, 0x3e903f40, v5
	v_fma_f32 v22, 0xbf75a155, v34, -v22
	v_dual_fmac_f32 v5, 0xbe903f40, v6 :: v_dual_add_f32 v24, v24, v27
	s_delay_alu instid0(VALU_DEP_1) | instskip(SKIP_3) | instid1(VALU_DEP_2)
	v_dual_add_f32 v21, v22, v21 :: v_dual_add_f32 v22, v5, v30
	v_fmamk_f32 v5, v6, 0xbf68dda4, v8
	v_dual_fmac_f32 v8, 0x3f68dda4, v6 :: v_dual_mul_f32 v23, 0x3f68dda4, v32
	v_dual_add_f32 v30, v10, v11 :: v_dual_add_f32 v25, v31, v25
	v_dual_add_f32 v32, v5, v33 :: v_dual_fmamk_f32 v31, v34, 0x3ed4b147, v23
	v_fma_f32 v23, 0x3ed4b147, v34, -v23
	s_delay_alu instid0(VALU_DEP_3) | instskip(NEXT) | instid1(VALU_DEP_3)
	v_mul_f32_e32 v33, 0xbf27a4f4, v30
	v_dual_add_f32 v27, v31, v28 :: v_dual_sub_f32 v28, v10, v11
	v_add_f32_e32 v31, v7, v29
	v_sub_f32_e32 v29, v7, v29
	v_dual_mul_f32 v7, 0xbf75a155, v30 :: v_dual_add_f32 v0, v23, v0
	s_delay_alu instid0(VALU_DEP_4) | instskip(SKIP_2) | instid1(VALU_DEP_4)
	v_mul_f32_e32 v10, 0xbe903f40, v28
	v_mul_f32_e32 v11, 0x3f0a6770, v28
	;; [unrolled: 1-line block ×3, first 2 shown]
	v_fmamk_f32 v6, v29, 0x3e903f40, v7
	v_fmac_f32_e32 v7, 0xbe903f40, v29
	v_fmamk_f32 v5, v31, 0xbf75a155, v10
	v_add_f32_e32 v1, v8, v1
	v_fma_f32 v8, 0xbf75a155, v31, -v10
	v_fmamk_f32 v10, v31, 0x3f575c64, v11
	s_delay_alu instid0(VALU_DEP_4)
	v_dual_add_f32 v7, v7, v9 :: v_dual_add_f32 v4, v5, v4
	v_add_f32_e32 v5, v6, v14
	v_mul_f32_e32 v14, 0x3f575c64, v30
	v_add_f32_e32 v6, v8, v12
	v_add_f32_e32 v8, v10, v13
	v_fma_f32 v10, 0x3f575c64, v31, -v11
	v_fmamk_f32 v13, v29, 0x3f4178ce, v33
	v_fmamk_f32 v9, v29, 0xbf0a6770, v14
	v_fmac_f32_e32 v14, 0x3f0a6770, v29
	s_delay_alu instid0(VALU_DEP_4) | instskip(NEXT) | instid1(VALU_DEP_4)
	v_dual_fmac_f32 v33, 0xbf4178ce, v29 :: v_dual_add_f32 v10, v10, v15
	v_add_f32_e32 v13, v13, v26
	s_delay_alu instid0(VALU_DEP_3)
	v_add_f32_e32 v11, v14, v16
	v_mul_f32_e32 v16, 0x3f68dda4, v28
	v_fmamk_f32 v12, v31, 0xbf27a4f4, v23
	v_fma_f32 v14, 0xbf27a4f4, v31, -v23
	v_add_f32_e32 v15, v33, v20
	v_mul_f32_e32 v23, 0xbf7d64f0, v28
	s_delay_alu instid0(VALU_DEP_4) | instskip(SKIP_2) | instid1(VALU_DEP_2)
	v_dual_add_f32 v9, v9, v18 :: v_dual_add_f32 v12, v12, v19
	v_dual_mul_f32 v19, 0x3ed4b147, v30 :: v_dual_fmamk_f32 v18, v31, 0x3ed4b147, v16
	v_fma_f32 v20, 0x3ed4b147, v31, -v16
	v_dual_add_f32 v14, v14, v17 :: v_dual_fmamk_f32 v17, v29, 0xbf68dda4, v19
	s_delay_alu instid0(VALU_DEP_3) | instskip(NEXT) | instid1(VALU_DEP_3)
	v_dual_add_f32 v16, v18, v25 :: v_dual_mul_f32 v25, 0xbe11bafb, v30
	v_add_f32_e32 v18, v20, v21
	v_fmamk_f32 v20, v31, 0xbe11bafb, v23
	v_fmac_f32_e32 v19, 0x3f68dda4, v29
	v_fma_f32 v23, 0xbe11bafb, v31, -v23
	s_delay_alu instid0(VALU_DEP_3) | instskip(NEXT) | instid1(VALU_DEP_3)
	v_dual_add_f32 v17, v17, v24 :: v_dual_add_f32 v20, v20, v27
	v_add_f32_e32 v19, v19, v22
	s_delay_alu instid0(VALU_DEP_3) | instskip(SKIP_3) | instid1(VALU_DEP_2)
	v_add_f32_e32 v22, v23, v0
	v_add_nc_u32_e32 v0, 0x800, v86
	v_fmamk_f32 v21, v29, 0x3f7d64f0, v25
	v_fmac_f32_e32 v25, 0xbf7d64f0, v29
	v_add_f32_e32 v21, v21, v32
	s_delay_alu instid0(VALU_DEP_2)
	v_add_f32_e32 v23, v25, v1
	v_add_nc_u32_e32 v1, 0xc00, v86
	ds_store_2addr_b64 v86, v[4:5], v[8:9] offset0:65 offset1:130
	ds_store_2addr_b64 v3, v[12:13], v[16:17] offset0:67 offset1:132
	;; [unrolled: 1-line block ×5, first 2 shown]
	global_wb scope:SCOPE_SE
	s_wait_dscnt 0x0
	s_barrier_signal -1
	s_barrier_wait -1
	global_inv scope:SCOPE_SE
	s_and_b32 exec_lo, exec_lo, vcc_lo
	s_cbranch_execz .LBB0_23
; %bb.22:
	s_clause 0xb
	global_load_b64 v[27:28], v81, s[8:9]
	global_load_b64 v[29:30], v81, s[8:9] offset:440
	global_load_b64 v[31:32], v81, s[8:9] offset:880
	;; [unrolled: 1-line block ×11, first 2 shown]
	v_mad_co_u64_u32 v[15:16], null, s6, v74, 0
	v_mad_co_u64_u32 v[51:52], null, s4, v82, 0
	s_mov_b32 s2, 0xd118b474
	s_mov_b32 s3, 0x3f56ea28
	s_mul_u64 s[0:1], s[4:5], 0x1b8
	s_delay_alu instid0(VALU_DEP_2) | instskip(NEXT) | instid1(VALU_DEP_2)
	v_mov_b32_e32 v3, v16
	v_mov_b32_e32 v7, v52
	s_delay_alu instid0(VALU_DEP_2)
	v_mad_co_u64_u32 v[11:12], null, s7, v74, v[3:4]
	ds_load_b64 v[53:54], v86
	ds_load_2addr_b64 v[3:6], v86 offset0:55 offset1:110
	v_mad_co_u64_u32 v[17:18], null, s5, v82, v[7:8]
	ds_load_2addr_b64 v[7:10], v86 offset0:165 offset1:220
	v_mov_b32_e32 v16, v11
	ds_load_2addr_b64 v[11:14], v0 offset0:19 offset1:74
	v_mov_b32_e32 v52, v17
	v_lshlrev_b64_e32 v[55:56], 3, v[15:16]
	ds_load_2addr_b64 v[15:18], v0 offset0:129 offset1:184
	ds_load_2addr_b64 v[19:22], v1 offset0:111 offset1:166
	ds_load_2addr_b64 v[23:26], v2 offset0:93 offset1:148
	v_lshlrev_b64_e32 v[0:1], 3, v[51:52]
	v_add_co_u32 v55, vcc_lo, s12, v55
	v_add_co_ci_u32_e32 v56, vcc_lo, s13, v56, vcc_lo
	s_delay_alu instid0(VALU_DEP_2) | instskip(SKIP_1) | instid1(VALU_DEP_2)
	v_add_co_u32 v0, vcc_lo, v55, v0
	s_wait_alu 0xfffd
	v_add_co_ci_u32_e32 v1, vcc_lo, v56, v1, vcc_lo
	s_wait_loadcnt_dscnt 0xa05
	v_dual_mul_f32 v2, v54, v28 :: v_dual_mul_f32 v51, v4, v30
	s_wait_loadcnt_dscnt 0x804
	v_dual_mul_f32 v28, v53, v28 :: v_dual_mul_f32 v57, v8, v34
	v_mul_f32_e32 v30, v3, v30
	s_wait_loadcnt_dscnt 0x603
	v_dual_mul_f32 v52, v6, v32 :: v_dual_mul_f32 v59, v12, v38
	s_wait_loadcnt_dscnt 0x402
	v_dual_mul_f32 v32, v5, v32 :: v_dual_mul_f32 v61, v16, v42
	v_mul_f32_e32 v34, v7, v34
	s_wait_loadcnt_dscnt 0x201
	v_dual_mul_f32 v58, v10, v36 :: v_dual_mul_f32 v63, v20, v46
	s_wait_loadcnt_dscnt 0x0
	v_dual_mul_f32 v36, v9, v36 :: v_dual_mul_f32 v65, v24, v50
	v_mul_f32_e32 v38, v11, v38
	v_fmac_f32_e32 v2, v53, v27
	v_fma_f32 v27, v27, v54, -v28
	v_dual_mul_f32 v60, v14, v40 :: v_dual_fmac_f32 v51, v3, v29
	v_dual_mul_f32 v40, v13, v40 :: v_dual_fmac_f32 v57, v7, v33
	v_fma_f32 v28, v29, v4, -v30
	v_mul_f32_e32 v42, v15, v42
	v_fmac_f32_e32 v52, v5, v31
	v_fma_f32 v29, v31, v6, -v32
	v_dual_mul_f32 v62, v18, v44 :: v_dual_fmac_f32 v59, v11, v37
	v_dual_mul_f32 v44, v17, v44 :: v_dual_fmac_f32 v61, v15, v41
	v_fma_f32 v30, v33, v8, -v34
	v_mul_f32_e32 v46, v19, v46
	v_dual_mul_f32 v64, v22, v48 :: v_dual_fmac_f32 v63, v19, v45
	v_fmac_f32_e32 v58, v9, v35
	v_fma_f32 v31, v35, v10, -v36
	v_dual_mul_f32 v48, v21, v48 :: v_dual_fmac_f32 v65, v23, v49
	v_fma_f32 v32, v37, v12, -v38
	v_cvt_f64_f32_e32 v[2:3], v2
	v_cvt_f64_f32_e32 v[4:5], v27
	v_mul_f32_e32 v50, v23, v50
	v_fmac_f32_e32 v60, v13, v39
	v_fma_f32 v33, v39, v14, -v40
	v_cvt_f64_f32_e32 v[6:7], v51
	v_cvt_f64_f32_e32 v[8:9], v28
	v_fma_f32 v35, v41, v16, -v42
	v_cvt_f64_f32_e32 v[10:11], v52
	v_cvt_f64_f32_e32 v[12:13], v29
	v_fmac_f32_e32 v62, v17, v43
	v_fma_f32 v39, v43, v18, -v44
	v_cvt_f64_f32_e32 v[14:15], v57
	v_cvt_f64_f32_e32 v[16:17], v30
	v_fma_f32 v43, v45, v20, -v46
	v_fmac_f32_e32 v64, v21, v47
	v_cvt_f64_f32_e32 v[18:19], v58
	v_cvt_f64_f32_e32 v[20:21], v31
	v_fma_f32 v47, v47, v22, -v48
	v_cvt_f64_f32_e32 v[22:23], v59
	v_cvt_f64_f32_e32 v[27:28], v32
	v_fma_f32 v24, v49, v24, -v50
	v_cvt_f64_f32_e32 v[29:30], v60
	v_cvt_f64_f32_e32 v[31:32], v33
	;; [unrolled: 1-line block ×12, first 2 shown]
	s_wait_alu 0xfffe
	v_add_co_u32 v53, vcc_lo, v0, s0
	s_wait_alu 0xfffd
	v_add_co_ci_u32_e32 v54, vcc_lo, s1, v1, vcc_lo
	v_mul_f64_e32 v[2:3], s[2:3], v[2:3]
	v_mul_f64_e32 v[4:5], s[2:3], v[4:5]
	v_add_co_u32 v55, vcc_lo, v53, s0
	s_wait_alu 0xfffd
	v_add_co_ci_u32_e32 v56, vcc_lo, s1, v54, vcc_lo
	v_mul_f64_e32 v[6:7], s[2:3], v[6:7]
	v_mul_f64_e32 v[8:9], s[2:3], v[8:9]
	;; [unrolled: 1-line block ×4, first 2 shown]
	v_add_co_u32 v57, vcc_lo, v55, s0
	v_mul_f64_e32 v[14:15], s[2:3], v[14:15]
	v_mul_f64_e32 v[16:17], s[2:3], v[16:17]
	s_wait_alu 0xfffd
	v_add_co_ci_u32_e32 v58, vcc_lo, s1, v56, vcc_lo
	v_mul_f64_e32 v[18:19], s[2:3], v[18:19]
	v_mul_f64_e32 v[20:21], s[2:3], v[20:21]
	v_add_co_u32 v59, vcc_lo, v57, s0
	v_mul_f64_e32 v[22:23], s[2:3], v[22:23]
	v_mul_f64_e32 v[27:28], s[2:3], v[27:28]
	v_mul_f64_e32 v[29:30], s[2:3], v[29:30]
	v_mul_f64_e32 v[31:32], s[2:3], v[31:32]
	v_mul_f64_e32 v[33:34], s[2:3], v[33:34]
	v_mul_f64_e32 v[35:36], s[2:3], v[35:36]
	v_mul_f64_e32 v[37:38], s[2:3], v[37:38]
	v_mul_f64_e32 v[39:40], s[2:3], v[39:40]
	v_mul_f64_e32 v[41:42], s[2:3], v[41:42]
	v_mul_f64_e32 v[43:44], s[2:3], v[43:44]
	v_mul_f64_e32 v[45:46], s[2:3], v[45:46]
	v_mul_f64_e32 v[47:48], s[2:3], v[47:48]
	v_mul_f64_e32 v[49:50], s[2:3], v[49:50]
	v_mul_f64_e32 v[51:52], s[2:3], v[51:52]
	s_wait_alu 0xfffd
	v_add_co_ci_u32_e32 v60, vcc_lo, s1, v58, vcc_lo
	v_add_co_u32 v61, vcc_lo, v59, s0
	v_cvt_f32_f64_e32 v2, v[2:3]
	v_cvt_f32_f64_e32 v3, v[4:5]
	s_wait_alu 0xfffd
	v_add_co_ci_u32_e32 v62, vcc_lo, s1, v60, vcc_lo
	v_cvt_f32_f64_e32 v4, v[6:7]
	v_cvt_f32_f64_e32 v5, v[8:9]
	;; [unrolled: 1-line block ×22, first 2 shown]
	v_add_co_u32 v29, vcc_lo, v61, s0
	s_wait_alu 0xfffd
	v_add_co_ci_u32_e32 v30, vcc_lo, s1, v62, vcc_lo
	s_delay_alu instid0(VALU_DEP_2) | instskip(SKIP_1) | instid1(VALU_DEP_2)
	v_add_co_u32 v31, vcc_lo, v29, s0
	s_wait_alu 0xfffd
	v_add_co_ci_u32_e32 v32, vcc_lo, s1, v30, vcc_lo
	s_delay_alu instid0(VALU_DEP_2) | instskip(SKIP_1) | instid1(VALU_DEP_2)
	v_add_co_u32 v33, vcc_lo, v31, s0
	s_wait_alu 0xfffd
	v_add_co_ci_u32_e32 v34, vcc_lo, s1, v32, vcc_lo
	s_delay_alu instid0(VALU_DEP_2) | instskip(SKIP_1) | instid1(VALU_DEP_2)
	v_add_co_u32 v35, vcc_lo, v33, s0
	s_wait_alu 0xfffd
	v_add_co_ci_u32_e32 v36, vcc_lo, s1, v34, vcc_lo
	s_delay_alu instid0(VALU_DEP_2) | instskip(SKIP_1) | instid1(VALU_DEP_2)
	v_add_co_u32 v37, vcc_lo, v35, s0
	s_wait_alu 0xfffd
	v_add_co_ci_u32_e32 v38, vcc_lo, s1, v36, vcc_lo
	s_delay_alu instid0(VALU_DEP_2) | instskip(SKIP_1) | instid1(VALU_DEP_2)
	v_add_co_u32 v39, vcc_lo, v37, s0
	s_wait_alu 0xfffd
	v_add_co_ci_u32_e32 v40, vcc_lo, s1, v38, vcc_lo
	s_clause 0x4
	global_store_b64 v[0:1], v[2:3], off
	global_store_b64 v[53:54], v[4:5], off
	;; [unrolled: 1-line block ×12, first 2 shown]
	global_load_b64 v[0:1], v81, s[8:9] offset:5280
	s_wait_loadcnt 0x0
	v_mul_f32_e32 v2, v26, v1
	v_mul_f32_e32 v1, v25, v1
	s_delay_alu instid0(VALU_DEP_2) | instskip(NEXT) | instid1(VALU_DEP_2)
	v_fmac_f32_e32 v2, v25, v0
	v_fma_f32 v3, v0, v26, -v1
	s_delay_alu instid0(VALU_DEP_2) | instskip(NEXT) | instid1(VALU_DEP_2)
	v_cvt_f64_f32_e32 v[0:1], v2
	v_cvt_f64_f32_e32 v[2:3], v3
	s_delay_alu instid0(VALU_DEP_2) | instskip(NEXT) | instid1(VALU_DEP_2)
	v_mul_f64_e32 v[0:1], s[2:3], v[0:1]
	v_mul_f64_e32 v[2:3], s[2:3], v[2:3]
	s_delay_alu instid0(VALU_DEP_2) | instskip(NEXT) | instid1(VALU_DEP_2)
	v_cvt_f32_f64_e32 v0, v[0:1]
	v_cvt_f32_f64_e32 v1, v[2:3]
	v_add_co_u32 v2, vcc_lo, v39, s0
	s_wait_alu 0xfffd
	v_add_co_ci_u32_e32 v3, vcc_lo, s1, v40, vcc_lo
	global_store_b64 v[2:3], v[0:1], off
.LBB0_23:
	s_nop 0
	s_sendmsg sendmsg(MSG_DEALLOC_VGPRS)
	s_endpgm
	.section	.rodata,"a",@progbits
	.p2align	6, 0x0
	.amdhsa_kernel bluestein_single_fwd_len715_dim1_sp_op_CI_CI
		.amdhsa_group_segment_fixed_size 17160
		.amdhsa_private_segment_fixed_size 0
		.amdhsa_kernarg_size 104
		.amdhsa_user_sgpr_count 2
		.amdhsa_user_sgpr_dispatch_ptr 0
		.amdhsa_user_sgpr_queue_ptr 0
		.amdhsa_user_sgpr_kernarg_segment_ptr 1
		.amdhsa_user_sgpr_dispatch_id 0
		.amdhsa_user_sgpr_private_segment_size 0
		.amdhsa_wavefront_size32 1
		.amdhsa_uses_dynamic_stack 0
		.amdhsa_enable_private_segment 0
		.amdhsa_system_sgpr_workgroup_id_x 1
		.amdhsa_system_sgpr_workgroup_id_y 0
		.amdhsa_system_sgpr_workgroup_id_z 0
		.amdhsa_system_sgpr_workgroup_info 0
		.amdhsa_system_vgpr_workitem_id 0
		.amdhsa_next_free_vgpr 218
		.amdhsa_next_free_sgpr 14
		.amdhsa_reserve_vcc 1
		.amdhsa_float_round_mode_32 0
		.amdhsa_float_round_mode_16_64 0
		.amdhsa_float_denorm_mode_32 3
		.amdhsa_float_denorm_mode_16_64 3
		.amdhsa_fp16_overflow 0
		.amdhsa_workgroup_processor_mode 1
		.amdhsa_memory_ordered 1
		.amdhsa_forward_progress 0
		.amdhsa_round_robin_scheduling 0
		.amdhsa_exception_fp_ieee_invalid_op 0
		.amdhsa_exception_fp_denorm_src 0
		.amdhsa_exception_fp_ieee_div_zero 0
		.amdhsa_exception_fp_ieee_overflow 0
		.amdhsa_exception_fp_ieee_underflow 0
		.amdhsa_exception_fp_ieee_inexact 0
		.amdhsa_exception_int_div_zero 0
	.end_amdhsa_kernel
	.text
.Lfunc_end0:
	.size	bluestein_single_fwd_len715_dim1_sp_op_CI_CI, .Lfunc_end0-bluestein_single_fwd_len715_dim1_sp_op_CI_CI
                                        ; -- End function
	.section	.AMDGPU.csdata,"",@progbits
; Kernel info:
; codeLenInByte = 18372
; NumSgprs: 16
; NumVgprs: 218
; ScratchSize: 0
; MemoryBound: 0
; FloatMode: 240
; IeeeMode: 1
; LDSByteSize: 17160 bytes/workgroup (compile time only)
; SGPRBlocks: 1
; VGPRBlocks: 27
; NumSGPRsForWavesPerEU: 16
; NumVGPRsForWavesPerEU: 218
; Occupancy: 6
; WaveLimiterHint : 1
; COMPUTE_PGM_RSRC2:SCRATCH_EN: 0
; COMPUTE_PGM_RSRC2:USER_SGPR: 2
; COMPUTE_PGM_RSRC2:TRAP_HANDLER: 0
; COMPUTE_PGM_RSRC2:TGID_X_EN: 1
; COMPUTE_PGM_RSRC2:TGID_Y_EN: 0
; COMPUTE_PGM_RSRC2:TGID_Z_EN: 0
; COMPUTE_PGM_RSRC2:TIDIG_COMP_CNT: 0
	.text
	.p2alignl 7, 3214868480
	.fill 96, 4, 3214868480
	.type	__hip_cuid_ef22b4d1d64044a,@object ; @__hip_cuid_ef22b4d1d64044a
	.section	.bss,"aw",@nobits
	.globl	__hip_cuid_ef22b4d1d64044a
__hip_cuid_ef22b4d1d64044a:
	.byte	0                               ; 0x0
	.size	__hip_cuid_ef22b4d1d64044a, 1

	.ident	"AMD clang version 19.0.0git (https://github.com/RadeonOpenCompute/llvm-project roc-6.4.0 25133 c7fe45cf4b819c5991fe208aaa96edf142730f1d)"
	.section	".note.GNU-stack","",@progbits
	.addrsig
	.addrsig_sym __hip_cuid_ef22b4d1d64044a
	.amdgpu_metadata
---
amdhsa.kernels:
  - .args:
      - .actual_access:  read_only
        .address_space:  global
        .offset:         0
        .size:           8
        .value_kind:     global_buffer
      - .actual_access:  read_only
        .address_space:  global
        .offset:         8
        .size:           8
        .value_kind:     global_buffer
      - .actual_access:  read_only
        .address_space:  global
        .offset:         16
        .size:           8
        .value_kind:     global_buffer
      - .actual_access:  read_only
        .address_space:  global
        .offset:         24
        .size:           8
        .value_kind:     global_buffer
      - .actual_access:  read_only
        .address_space:  global
        .offset:         32
        .size:           8
        .value_kind:     global_buffer
      - .offset:         40
        .size:           8
        .value_kind:     by_value
      - .address_space:  global
        .offset:         48
        .size:           8
        .value_kind:     global_buffer
      - .address_space:  global
        .offset:         56
        .size:           8
        .value_kind:     global_buffer
      - .address_space:  global
        .offset:         64
        .size:           8
        .value_kind:     global_buffer
      - .address_space:  global
        .offset:         72
        .size:           8
        .value_kind:     global_buffer
      - .offset:         80
        .size:           4
        .value_kind:     by_value
      - .address_space:  global
        .offset:         88
        .size:           8
        .value_kind:     global_buffer
      - .address_space:  global
        .offset:         96
        .size:           8
        .value_kind:     global_buffer
    .group_segment_fixed_size: 17160
    .kernarg_segment_align: 8
    .kernarg_segment_size: 104
    .language:       OpenCL C
    .language_version:
      - 2
      - 0
    .max_flat_workgroup_size: 195
    .name:           bluestein_single_fwd_len715_dim1_sp_op_CI_CI
    .private_segment_fixed_size: 0
    .sgpr_count:     16
    .sgpr_spill_count: 0
    .symbol:         bluestein_single_fwd_len715_dim1_sp_op_CI_CI.kd
    .uniform_work_group_size: 1
    .uses_dynamic_stack: false
    .vgpr_count:     218
    .vgpr_spill_count: 0
    .wavefront_size: 32
    .workgroup_processor_mode: 1
amdhsa.target:   amdgcn-amd-amdhsa--gfx1201
amdhsa.version:
  - 1
  - 2
...

	.end_amdgpu_metadata
